;; amdgpu-corpus repo=ROCm/rocFFT kind=compiled arch=gfx1030 opt=O3
	.text
	.amdgcn_target "amdgcn-amd-amdhsa--gfx1030"
	.amdhsa_code_object_version 6
	.protected	bluestein_single_back_len484_dim1_dp_op_CI_CI ; -- Begin function bluestein_single_back_len484_dim1_dp_op_CI_CI
	.globl	bluestein_single_back_len484_dim1_dp_op_CI_CI
	.p2align	8
	.type	bluestein_single_back_len484_dim1_dp_op_CI_CI,@function
bluestein_single_back_len484_dim1_dp_op_CI_CI: ; @bluestein_single_back_len484_dim1_dp_op_CI_CI
; %bb.0:
	s_load_dwordx4 s[8:11], s[4:5], 0x28
	v_mul_u32_u24_e32 v1, 0x5d2, v0
	v_mov_b32_e32 v165, 0
	s_mov_b32 s0, exec_lo
	v_lshrrev_b32_e32 v1, 16, v1
	v_add_nc_u32_e32 v164, s6, v1
	s_waitcnt lgkmcnt(0)
	v_cmpx_gt_u64_e64 s[8:9], v[164:165]
	s_cbranch_execz .LBB0_15
; %bb.1:
	s_clause 0x1
	s_load_dwordx4 s[0:3], s[4:5], 0x18
	s_load_dwordx2 s[6:7], s[4:5], 0x0
	v_mul_lo_u16 v1, v1, 44
	v_sub_nc_u16 v98, v0, v1
	v_and_b32_e32 v170, 0xffff, v98
	v_lshlrev_b32_e32 v169, 4, v170
	s_waitcnt lgkmcnt(0)
	s_load_dwordx4 s[12:15], s[0:1], 0x0
	v_add_co_u32 v160, s0, s6, v169
	v_add_co_ci_u32_e64 v161, null, s7, 0, s0
	global_load_dwordx4 v[0:3], v169, s[6:7] offset:1936
	v_add_co_u32 v165, vcc_lo, 0x800, v160
	v_add_co_ci_u32_e32 v166, vcc_lo, 0, v161, vcc_lo
	v_add_co_u32 v162, vcc_lo, 0x1000, v160
	v_add_co_ci_u32_e32 v163, vcc_lo, 0, v161, vcc_lo
	v_add_co_u32 v167, vcc_lo, 0x1800, v160
	v_add_co_ci_u32_e32 v168, vcc_lo, 0, v161, vcc_lo
	s_clause 0x1
	global_load_dwordx4 v[8:11], v169, s[6:7]
	global_load_dwordx4 v[4:7], v169, s[6:7] offset:704
	s_waitcnt lgkmcnt(0)
	v_mad_u64_u32 v[24:25], null, s14, v164, 0
	v_mad_u64_u32 v[26:27], null, s12, v170, 0
	s_mul_i32 s1, s13, 0x79
	s_mul_hi_u32 s7, s12, 0x79
	s_mul_i32 s0, s12, 0x79
	s_add_i32 s1, s7, s1
	v_mov_b32_e32 v12, v25
	s_mul_hi_u32 s9, s12, 0xfffffec1
	v_mov_b32_e32 v13, v27
	s_mul_i32 s8, s13, 0xfffffec1
	s_mul_i32 s6, s12, 0xfffffec1
	v_mad_u64_u32 v[27:28], null, s15, v164, v[12:13]
	v_mad_u64_u32 v[28:29], null, s13, v170, v[13:14]
	s_lshl_b64 s[14:15], s[0:1], 4
	s_sub_i32 s0, s9, s12
	s_clause 0x2
	global_load_dwordx4 v[16:19], v[162:163], off offset:1712
	global_load_dwordx4 v[20:23], v[165:166], off offset:1824
	;; [unrolled: 1-line block ×3, first 2 shown]
	s_add_i32 s7, s0, s8
	v_mov_b32_e32 v25, v27
	s_lshl_b64 s[0:1], s[6:7], 4
	v_mov_b32_e32 v27, v28
	v_lshlrev_b64 v[24:25], 4, v[24:25]
	v_lshlrev_b64 v[26:27], 4, v[26:27]
	v_add_co_u32 v24, vcc_lo, s10, v24
	v_add_co_ci_u32_e32 v25, vcc_lo, s11, v25, vcc_lo
	v_add_co_u32 v24, vcc_lo, v24, v26
	v_add_co_ci_u32_e32 v25, vcc_lo, v25, v27, vcc_lo
	;; [unrolled: 2-line block ×3, first 2 shown]
	s_clause 0x1
	global_load_dwordx4 v[34:37], v[24:25], off
	global_load_dwordx4 v[38:41], v[26:27], off
	v_add_co_u32 v28, vcc_lo, v26, s14
	v_add_co_ci_u32_e32 v29, vcc_lo, s15, v27, vcc_lo
	v_add_co_u32 v30, vcc_lo, v28, s14
	v_add_co_ci_u32_e32 v31, vcc_lo, s15, v29, vcc_lo
	s_clause 0x1
	global_load_dwordx4 v[42:45], v[28:29], off
	global_load_dwordx4 v[46:49], v[30:31], off
	v_add_co_u32 v32, vcc_lo, v30, s0
	v_add_co_ci_u32_e32 v33, vcc_lo, s1, v31, vcc_lo
	v_add_co_u32 v24, vcc_lo, v32, s14
	v_add_co_ci_u32_e32 v25, vcc_lo, s15, v33, vcc_lo
	global_load_dwordx4 v[50:53], v[32:33], off
	v_add_co_u32 v28, vcc_lo, v24, s14
	v_add_co_ci_u32_e32 v29, vcc_lo, s15, v25, vcc_lo
	v_add_co_u32 v32, vcc_lo, v28, s14
	v_add_co_ci_u32_e32 v33, vcc_lo, s15, v29, vcc_lo
	global_load_dwordx4 v[54:57], v[24:25], off
	global_load_dwordx4 v[24:27], v[162:163], off offset:480
	global_load_dwordx4 v[58:61], v[28:29], off
	global_load_dwordx4 v[28:31], v[167:168], off offset:368
	global_load_dwordx4 v[62:65], v[32:33], off
	s_load_dwordx2 s[6:7], s[4:5], 0x38
	s_load_dwordx4 s[8:11], s[2:3], 0x0
	v_cmp_gt_u16_e32 vcc_lo, 33, v98
	s_waitcnt vmcnt(9)
	v_mul_f64 v[66:67], v[36:37], v[10:11]
	v_mul_f64 v[68:69], v[34:35], v[10:11]
	s_waitcnt vmcnt(8)
	v_mul_f64 v[70:71], v[40:41], v[2:3]
	v_mul_f64 v[72:73], v[38:39], v[2:3]
	;; [unrolled: 3-line block ×4, first 2 shown]
	v_fma_f64 v[34:35], v[34:35], v[8:9], v[66:67]
	s_waitcnt vmcnt(5)
	v_mul_f64 v[82:83], v[52:53], v[6:7]
	v_mul_f64 v[84:85], v[50:51], v[6:7]
	v_fma_f64 v[36:37], v[36:37], v[8:9], -v[68:69]
	v_fma_f64 v[38:39], v[38:39], v[0:1], v[70:71]
	v_fma_f64 v[40:41], v[40:41], v[0:1], -v[72:73]
	s_waitcnt vmcnt(4)
	v_mul_f64 v[86:87], v[56:57], v[14:15]
	v_mul_f64 v[88:89], v[54:55], v[14:15]
	s_waitcnt vmcnt(2)
	v_mul_f64 v[90:91], v[60:61], v[26:27]
	v_mul_f64 v[92:93], v[58:59], v[26:27]
	;; [unrolled: 3-line block ×3, first 2 shown]
	v_fma_f64 v[42:43], v[42:43], v[20:21], v[74:75]
	v_fma_f64 v[44:45], v[44:45], v[20:21], -v[76:77]
	v_fma_f64 v[46:47], v[46:47], v[16:17], v[78:79]
	v_fma_f64 v[48:49], v[48:49], v[16:17], -v[80:81]
	ds_write_b128 v169, v[34:37]
	ds_write_b128 v169, v[38:41] offset:1936
	ds_write_b128 v169, v[42:45] offset:3872
	;; [unrolled: 1-line block ×3, first 2 shown]
	v_fma_f64 v[50:51], v[50:51], v[4:5], v[82:83]
	v_fma_f64 v[52:53], v[52:53], v[4:5], -v[84:85]
	v_fma_f64 v[54:55], v[54:55], v[12:13], v[86:87]
	v_fma_f64 v[56:57], v[56:57], v[12:13], -v[88:89]
	;; [unrolled: 2-line block ×4, first 2 shown]
	ds_write_b128 v169, v[50:53] offset:704
	ds_write_b128 v169, v[54:57] offset:2640
	;; [unrolled: 1-line block ×4, first 2 shown]
	s_and_saveexec_b32 s2, vcc_lo
	s_cbranch_execz .LBB0_3
; %bb.2:
	v_add_co_u32 v36, s0, v32, s0
	v_add_co_ci_u32_e64 v37, s0, s1, v33, s0
	v_add_co_u32 v40, s0, v36, s14
	v_add_co_ci_u32_e64 v41, s0, s15, v37, s0
	global_load_dwordx4 v[32:35], v[36:37], off
	v_add_co_u32 v48, s0, v40, s14
	v_add_co_ci_u32_e64 v49, s0, s15, v41, s0
	global_load_dwordx4 v[36:39], v[160:161], off offset:1408
	v_add_co_u32 v60, s0, v48, s14
	global_load_dwordx4 v[40:43], v[40:41], off
	v_add_co_ci_u32_e64 v61, s0, s15, v49, s0
	global_load_dwordx4 v[44:47], v[165:166], off offset:1296
	global_load_dwordx4 v[48:51], v[48:49], off
	s_clause 0x1
	global_load_dwordx4 v[52:55], v[162:163], off offset:1184
	global_load_dwordx4 v[56:59], v[167:168], off offset:1072
	global_load_dwordx4 v[60:63], v[60:61], off
	s_waitcnt vmcnt(6)
	v_mul_f64 v[64:65], v[34:35], v[38:39]
	v_mul_f64 v[38:39], v[32:33], v[38:39]
	s_waitcnt vmcnt(4)
	v_mul_f64 v[66:67], v[42:43], v[46:47]
	v_mul_f64 v[46:47], v[40:41], v[46:47]
	;; [unrolled: 3-line block ×4, first 2 shown]
	v_fma_f64 v[32:33], v[32:33], v[36:37], v[64:65]
	v_fma_f64 v[34:35], v[34:35], v[36:37], -v[38:39]
	v_fma_f64 v[36:37], v[40:41], v[44:45], v[66:67]
	v_fma_f64 v[38:39], v[42:43], v[44:45], -v[46:47]
	;; [unrolled: 2-line block ×4, first 2 shown]
	ds_write_b128 v169, v[32:35] offset:1408
	ds_write_b128 v169, v[36:39] offset:3344
	;; [unrolled: 1-line block ×4, first 2 shown]
.LBB0_3:
	s_or_b32 exec_lo, exec_lo, s2
	s_waitcnt lgkmcnt(0)
	s_barrier
	buffer_gl0_inv
	ds_read_b128 v[40:43], v169
	ds_read_b128 v[44:47], v169 offset:704
	ds_read_b128 v[52:55], v169 offset:1936
	;; [unrolled: 1-line block ×7, first 2 shown]
	s_load_dwordx2 s[28:29], s[4:5], 0x8
                                        ; implicit-def: $vgpr32_vgpr33
                                        ; implicit-def: $vgpr56_vgpr57
                                        ; implicit-def: $vgpr60_vgpr61
                                        ; implicit-def: $vgpr36_vgpr37
	s_and_saveexec_b32 s0, vcc_lo
	s_cbranch_execz .LBB0_5
; %bb.4:
	ds_read_b128 v[32:35], v169 offset:1408
	ds_read_b128 v[36:39], v169 offset:3344
	;; [unrolled: 1-line block ×4, first 2 shown]
.LBB0_5:
	s_or_b32 exec_lo, exec_lo, s0
	s_waitcnt lgkmcnt(0)
	v_add_f64 v[76:77], v[40:41], -v[76:77]
	v_add_f64 v[78:79], v[42:43], -v[78:79]
	v_add_f64 v[72:73], v[52:53], -v[72:73]
	v_add_f64 v[74:75], v[54:55], -v[74:75]
	v_add_f64 v[80:81], v[44:45], -v[68:69]
	v_add_f64 v[82:83], v[46:47], -v[70:71]
	v_add_f64 v[64:65], v[48:49], -v[64:65]
	v_add_f64 v[66:67], v[50:51], -v[66:67]
	v_lshlrev_b32_e32 v173, 6, v170
	s_barrier
	buffer_gl0_inv
	v_fma_f64 v[84:85], v[40:41], 2.0, -v[76:77]
	v_fma_f64 v[86:87], v[42:43], 2.0, -v[78:79]
	;; [unrolled: 1-line block ×8, first 2 shown]
	v_add_f64 v[40:41], v[32:33], -v[60:61]
	v_add_f64 v[42:43], v[34:35], -v[62:63]
	v_add_f64 v[48:49], v[76:77], -v[74:75]
	v_add_f64 v[50:51], v[78:79], v[72:73]
	v_add_f64 v[52:53], v[80:81], -v[66:67]
	v_add_f64 v[54:55], v[82:83], v[64:65]
	v_add_f64 v[60:61], v[84:85], -v[68:69]
	v_add_f64 v[62:63], v[86:87], -v[70:71]
	;; [unrolled: 1-line block ×6, first 2 shown]
	v_fma_f64 v[56:57], v[76:77], 2.0, -v[48:49]
	v_fma_f64 v[58:59], v[78:79], 2.0, -v[50:51]
	;; [unrolled: 1-line block ×6, first 2 shown]
	v_lshlrev_b16 v84, 2, v170
	v_mov_b32_e32 v85, 4
	v_fma_f64 v[80:81], v[88:89], 2.0, -v[68:69]
	v_fma_f64 v[82:83], v[90:91], 2.0, -v[70:71]
	v_add_f64 v[64:65], v[40:41], -v[46:47]
	v_add_f64 v[66:67], v[42:43], v[44:45]
	v_add_co_u32 v86, null, 0x58, v170
	v_lshlrev_b32_sdwa v172, v85, v84 dst_sel:DWORD dst_unused:UNUSED_PAD src0_sel:DWORD src1_sel:WORD_0
	ds_write_b128 v172, v[48:51] offset:48
	ds_write_b128 v172, v[56:59] offset:16
	;; [unrolled: 1-line block ×5, first 2 shown]
	ds_write_b128 v172, v[76:79]
	ds_write_b128 v173, v[80:83] offset:2816
	ds_write_b128 v173, v[52:55] offset:2864
	v_lshlrev_b32_e32 v171, 6, v86
	s_and_saveexec_b32 s0, vcc_lo
	s_cbranch_execz .LBB0_7
; %bb.6:
	v_fma_f64 v[48:49], v[34:35], 2.0, -v[42:43]
	v_fma_f64 v[34:35], v[38:39], 2.0, -v[46:47]
	;; [unrolled: 1-line block ×6, first 2 shown]
	v_add_f64 v[34:35], v[48:49], -v[34:35]
	v_add_f64 v[32:33], v[46:47], -v[32:33]
	v_fma_f64 v[42:43], v[48:49], 2.0, -v[34:35]
	v_fma_f64 v[40:41], v[46:47], 2.0, -v[32:33]
	ds_write_b128 v171, v[36:39] offset:16
	ds_write_b128 v171, v[32:35] offset:32
	ds_write_b128 v171, v[40:43]
	ds_write_b128 v171, v[64:67] offset:48
.LBB0_7:
	s_or_b32 exec_lo, exec_lo, s0
	v_and_b32_e32 v122, 3, v170
	s_waitcnt lgkmcnt(0)
	s_barrier
	buffer_gl0_inv
	ds_read_b128 v[80:83], v169
	ds_read_b128 v[44:47], v169 offset:704
	ds_read_b128 v[48:51], v169 offset:1408
	;; [unrolled: 1-line block ×10, first 2 shown]
	v_mul_u32_u24_e32 v32, 10, v122
	s_mov_b32 s18, 0xf8bb580b
	s_mov_b32 s30, 0x8eee2c13
	s_mov_b32 s2, 0x43842ef
	s_mov_b32 s16, 0xbb3a28a1
	v_lshlrev_b32_e32 v129, 4, v32
	s_mov_b32 s20, 0xfd768dbf
	s_mov_b32 s19, 0xbfe14ced
	;; [unrolled: 1-line block ×4, first 2 shown]
	s_clause 0x3
	global_load_dwordx4 v[32:35], v129, s[28:29] offset:48
	global_load_dwordx4 v[36:39], v129, s[28:29] offset:32
	;; [unrolled: 1-line block ×3, first 2 shown]
	global_load_dwordx4 v[56:59], v129, s[28:29]
	s_mov_b32 s17, 0xbfe82f19
	s_mov_b32 s21, 0xbfd207e7
	;; [unrolled: 1-line block ×20, first 2 shown]
	v_mad_u64_u32 v[179:180], null, 0xa0, v170, s[28:29]
	s_waitcnt vmcnt(0) lgkmcnt(9)
	v_mul_f64 v[84:85], v[46:47], v[58:59]
	v_fma_f64 v[120:121], v[44:45], v[56:57], -v[84:85]
	v_mul_f64 v[44:45], v[44:45], v[58:59]
	v_fma_f64 v[127:128], v[46:47], v[56:57], v[44:45]
	s_waitcnt lgkmcnt(8)
	v_mul_f64 v[44:45], v[50:51], v[42:43]
	v_fma_f64 v[108:109], v[48:49], v[40:41], -v[44:45]
	v_mul_f64 v[44:45], v[48:49], v[42:43]
	v_fma_f64 v[106:107], v[50:51], v[40:41], v[44:45]
	s_waitcnt lgkmcnt(7)
	;; [unrolled: 5-line block ×3, first 2 shown]
	v_mul_f64 v[44:45], v[62:63], v[34:35]
	v_fma_f64 v[96:97], v[60:61], v[32:33], -v[44:45]
	v_mul_f64 v[44:45], v[60:61], v[34:35]
	v_fma_f64 v[88:89], v[62:63], v[32:33], v[44:45]
	s_clause 0x3
	global_load_dwordx4 v[52:55], v129, s[28:29] offset:112
	global_load_dwordx4 v[48:51], v129, s[28:29] offset:96
	global_load_dwordx4 v[44:47], v129, s[28:29] offset:80
	global_load_dwordx4 v[60:63], v129, s[28:29] offset:64
	s_waitcnt vmcnt(0) lgkmcnt(5)
	v_mul_f64 v[84:85], v[70:71], v[62:63]
	v_fma_f64 v[90:91], v[68:69], v[60:61], -v[84:85]
	v_mul_f64 v[68:69], v[68:69], v[62:63]
	v_fma_f64 v[84:85], v[70:71], v[60:61], v[68:69]
	s_waitcnt lgkmcnt(4)
	v_mul_f64 v[68:69], v[74:75], v[46:47]
	v_fma_f64 v[92:93], v[72:73], v[44:45], -v[68:69]
	v_mul_f64 v[68:69], v[72:73], v[46:47]
	v_fma_f64 v[86:87], v[74:75], v[44:45], v[68:69]
	s_waitcnt lgkmcnt(3)
	;; [unrolled: 5-line block ×3, first 2 shown]
	v_mul_f64 v[68:69], v[114:115], v[54:55]
	v_add_f64 v[78:79], v[82:83], v[127:128]
	v_fma_f64 v[110:111], v[112:113], v[52:53], -v[68:69]
	v_mul_f64 v[68:69], v[112:113], v[54:55]
	v_add_f64 v[78:79], v[78:79], v[106:107]
	v_fma_f64 v[102:103], v[114:115], v[52:53], v[68:69]
	s_clause 0x1
	global_load_dwordx4 v[68:71], v129, s[28:29] offset:144
	global_load_dwordx4 v[72:75], v129, s[28:29] offset:128
	v_add_f64 v[78:79], v[78:79], v[98:99]
	s_waitcnt vmcnt(0) lgkmcnt(0)
	s_barrier
	buffer_gl0_inv
	v_add_f64 v[78:79], v[78:79], v[88:89]
	v_add_f64 v[78:79], v[78:79], v[84:85]
	;; [unrolled: 1-line block ×5, first 2 shown]
	v_mul_f64 v[76:77], v[118:119], v[74:75]
	v_fma_f64 v[114:115], v[116:117], v[72:73], -v[76:77]
	v_mul_f64 v[76:77], v[116:117], v[74:75]
	v_fma_f64 v[112:113], v[118:119], v[72:73], v[76:77]
	v_mul_f64 v[76:77], v[125:126], v[70:71]
	v_add_f64 v[78:79], v[78:79], v[112:113]
	v_fma_f64 v[116:117], v[123:124], v[68:69], -v[76:77]
	v_mul_f64 v[76:77], v[123:124], v[70:71]
	v_add_f64 v[123:124], v[120:121], v[116:117]
	v_fma_f64 v[118:119], v[125:126], v[68:69], v[76:77]
	v_add_f64 v[76:77], v[80:81], v[120:121]
	v_add_f64 v[78:79], v[78:79], v[118:119]
	v_add_f64 v[76:77], v[76:77], v[108:109]
	v_add_f64 v[125:126], v[127:128], v[118:119]
	v_add_f64 v[118:119], v[127:128], -v[118:119]
	v_add_f64 v[76:77], v[76:77], v[104:105]
	v_mul_f64 v[133:134], v[118:119], s[30:31]
	v_mul_f64 v[141:142], v[118:119], s[2:3]
	;; [unrolled: 1-line block ×3, first 2 shown]
	v_add_f64 v[76:77], v[76:77], v[96:97]
	v_fma_f64 v[135:136], v[123:124], s[4:5], -v[133:134]
	v_fma_f64 v[133:134], v[123:124], s[4:5], v[133:134]
	v_fma_f64 v[143:144], v[123:124], s[0:1], -v[141:142]
	v_fma_f64 v[141:142], v[123:124], s[0:1], v[141:142]
	;; [unrolled: 2-line block ×3, first 2 shown]
	v_add_f64 v[76:77], v[76:77], v[90:91]
	v_add_f64 v[135:136], v[80:81], v[135:136]
	;; [unrolled: 1-line block ×12, first 2 shown]
	v_add_f64 v[116:117], v[120:121], -v[116:117]
	v_mul_f64 v[120:121], v[118:119], s[18:19]
	v_mul_f64 v[118:119], v[118:119], s[20:21]
	;; [unrolled: 1-line block ×3, first 2 shown]
	v_fma_f64 v[127:128], v[123:124], s[12:13], -v[120:121]
	v_fma_f64 v[120:121], v[123:124], s[12:13], v[120:121]
	v_mul_f64 v[137:138], v[116:117], s[30:31]
	v_mul_f64 v[145:146], v[116:117], s[2:3]
	;; [unrolled: 1-line block ×3, first 2 shown]
	v_fma_f64 v[157:158], v[123:124], s[22:23], -v[118:119]
	v_mul_f64 v[116:117], v[116:117], s[20:21]
	v_fma_f64 v[118:119], v[123:124], s[22:23], v[118:119]
	v_fma_f64 v[131:132], v[125:126], s[12:13], v[129:130]
	v_add_f64 v[127:128], v[80:81], v[127:128]
	v_add_f64 v[120:121], v[80:81], v[120:121]
	v_fma_f64 v[129:130], v[125:126], s[12:13], -v[129:130]
	v_fma_f64 v[139:140], v[125:126], s[4:5], v[137:138]
	v_fma_f64 v[137:138], v[125:126], s[4:5], -v[137:138]
	v_fma_f64 v[147:148], v[125:126], s[0:1], v[145:146]
	;; [unrolled: 2-line block ×3, first 2 shown]
	v_fma_f64 v[153:154], v[125:126], s[14:15], -v[153:154]
	v_add_f64 v[157:158], v[80:81], v[157:158]
	v_fma_f64 v[174:175], v[125:126], s[22:23], v[116:117]
	v_add_f64 v[80:81], v[80:81], v[118:119]
	v_fma_f64 v[116:117], v[125:126], s[22:23], -v[116:117]
	v_add_f64 v[118:119], v[106:107], v[112:113]
	v_add_f64 v[106:107], v[106:107], -v[112:113]
	v_add_f64 v[131:132], v[82:83], v[131:132]
	v_add_f64 v[129:130], v[82:83], v[129:130]
	;; [unrolled: 1-line block ×11, first 2 shown]
	v_add_f64 v[108:109], v[108:109], -v[114:115]
	v_mul_f64 v[112:113], v[106:107], s[30:31]
	v_mul_f64 v[123:124], v[108:109], s[30:31]
	v_fma_f64 v[114:115], v[116:117], s[4:5], -v[112:113]
	v_fma_f64 v[112:113], v[116:117], s[4:5], v[112:113]
	v_fma_f64 v[125:126], v[118:119], s[4:5], v[123:124]
	v_add_f64 v[114:115], v[114:115], v[127:128]
	v_add_f64 v[112:113], v[112:113], v[120:121]
	v_fma_f64 v[120:121], v[118:119], s[4:5], -v[123:124]
	v_mul_f64 v[123:124], v[106:107], s[16:17]
	v_add_f64 v[125:126], v[125:126], v[131:132]
	v_add_f64 v[120:121], v[120:121], v[129:130]
	v_fma_f64 v[127:128], v[116:117], s[14:15], -v[123:124]
	v_fma_f64 v[123:124], v[116:117], s[14:15], v[123:124]
	v_mul_f64 v[129:130], v[108:109], s[16:17]
	v_add_f64 v[127:128], v[127:128], v[135:136]
	v_add_f64 v[123:124], v[123:124], v[133:134]
	v_mul_f64 v[133:134], v[106:107], s[36:37]
	v_fma_f64 v[131:132], v[118:119], s[14:15], v[129:130]
	v_fma_f64 v[129:130], v[118:119], s[14:15], -v[129:130]
	v_fma_f64 v[135:136], v[116:117], s[22:23], -v[133:134]
	v_fma_f64 v[133:134], v[116:117], s[22:23], v[133:134]
	v_add_f64 v[129:130], v[129:130], v[137:138]
	v_mul_f64 v[137:138], v[108:109], s[36:37]
	v_add_f64 v[131:132], v[131:132], v[139:140]
	v_add_f64 v[135:136], v[135:136], v[143:144]
	;; [unrolled: 1-line block ×3, first 2 shown]
	v_mul_f64 v[141:142], v[106:107], s[34:35]
	v_fma_f64 v[139:140], v[118:119], s[22:23], v[137:138]
	v_fma_f64 v[137:138], v[118:119], s[22:23], -v[137:138]
	v_mul_f64 v[106:107], v[106:107], s[26:27]
	v_fma_f64 v[143:144], v[116:117], s[0:1], -v[141:142]
	v_fma_f64 v[141:142], v[116:117], s[0:1], v[141:142]
	v_add_f64 v[137:138], v[137:138], v[145:146]
	v_mul_f64 v[145:146], v[108:109], s[34:35]
	v_mul_f64 v[108:109], v[108:109], s[26:27]
	v_add_f64 v[139:140], v[139:140], v[147:148]
	v_add_f64 v[143:144], v[143:144], v[151:152]
	;; [unrolled: 1-line block ×3, first 2 shown]
	v_fma_f64 v[149:150], v[116:117], s[12:13], -v[106:107]
	v_fma_f64 v[106:107], v[116:117], s[12:13], v[106:107]
	v_fma_f64 v[151:152], v[118:119], s[12:13], v[108:109]
	;; [unrolled: 1-line block ×3, first 2 shown]
	v_fma_f64 v[145:146], v[118:119], s[0:1], -v[145:146]
	v_add_f64 v[149:150], v[149:150], v[157:158]
	v_add_f64 v[80:81], v[106:107], v[80:81]
	v_fma_f64 v[106:107], v[118:119], s[12:13], -v[108:109]
	v_add_f64 v[108:109], v[98:99], v[102:103]
	v_add_f64 v[98:99], v[98:99], -v[102:103]
	v_add_f64 v[145:146], v[145:146], v[153:154]
	v_add_f64 v[151:152], v[151:152], v[174:175]
	;; [unrolled: 1-line block ×5, first 2 shown]
	v_mul_f64 v[102:103], v[98:99], s[2:3]
	v_add_f64 v[104:105], v[104:105], -v[110:111]
	v_fma_f64 v[110:111], v[106:107], s[0:1], -v[102:103]
	v_fma_f64 v[102:103], v[106:107], s[0:1], v[102:103]
	v_add_f64 v[110:111], v[110:111], v[114:115]
	v_mul_f64 v[114:115], v[104:105], s[2:3]
	v_add_f64 v[102:103], v[102:103], v[112:113]
	v_fma_f64 v[116:117], v[108:109], s[0:1], v[114:115]
	v_fma_f64 v[112:113], v[108:109], s[0:1], -v[114:115]
	v_mul_f64 v[114:115], v[98:99], s[36:37]
	v_add_f64 v[116:117], v[116:117], v[125:126]
	v_add_f64 v[112:113], v[112:113], v[120:121]
	v_fma_f64 v[118:119], v[106:107], s[22:23], -v[114:115]
	v_fma_f64 v[114:115], v[106:107], s[22:23], v[114:115]
	v_mul_f64 v[120:121], v[104:105], s[36:37]
	v_add_f64 v[118:119], v[118:119], v[127:128]
	v_add_f64 v[114:115], v[114:115], v[123:124]
	v_mul_f64 v[123:124], v[98:99], s[24:25]
	v_fma_f64 v[125:126], v[108:109], s[22:23], v[120:121]
	v_fma_f64 v[120:121], v[108:109], s[22:23], -v[120:121]
	v_fma_f64 v[127:128], v[106:107], s[4:5], -v[123:124]
	v_fma_f64 v[123:124], v[106:107], s[4:5], v[123:124]
	v_add_f64 v[120:121], v[120:121], v[129:130]
	v_mul_f64 v[129:130], v[104:105], s[24:25]
	v_add_f64 v[125:126], v[125:126], v[131:132]
	v_add_f64 v[127:128], v[127:128], v[135:136]
	;; [unrolled: 1-line block ×3, first 2 shown]
	v_mul_f64 v[133:134], v[98:99], s[18:19]
	v_fma_f64 v[131:132], v[108:109], s[4:5], v[129:130]
	v_fma_f64 v[129:130], v[108:109], s[4:5], -v[129:130]
	v_mul_f64 v[98:99], v[98:99], s[16:17]
	v_fma_f64 v[135:136], v[106:107], s[12:13], -v[133:134]
	v_fma_f64 v[133:134], v[106:107], s[12:13], v[133:134]
	v_add_f64 v[129:130], v[129:130], v[137:138]
	v_mul_f64 v[137:138], v[104:105], s[18:19]
	v_mul_f64 v[104:105], v[104:105], s[16:17]
	v_add_f64 v[131:132], v[131:132], v[139:140]
	v_add_f64 v[135:136], v[135:136], v[143:144]
	;; [unrolled: 1-line block ×3, first 2 shown]
	v_fma_f64 v[141:142], v[106:107], s[14:15], -v[98:99]
	v_fma_f64 v[98:99], v[106:107], s[14:15], v[98:99]
	v_fma_f64 v[139:140], v[108:109], s[12:13], v[137:138]
	v_fma_f64 v[137:138], v[108:109], s[12:13], -v[137:138]
	v_fma_f64 v[143:144], v[108:109], s[14:15], v[104:105]
	v_add_f64 v[141:142], v[141:142], v[149:150]
	v_add_f64 v[80:81], v[98:99], v[80:81]
	v_fma_f64 v[98:99], v[108:109], s[14:15], -v[104:105]
	v_add_f64 v[108:109], v[88:89], v[94:95]
	v_add_f64 v[88:89], v[88:89], -v[94:95]
	v_add_f64 v[137:138], v[137:138], v[145:146]
	v_add_f64 v[143:144], v[143:144], v[151:152]
	;; [unrolled: 1-line block ×5, first 2 shown]
	v_mul_f64 v[94:95], v[88:89], s[16:17]
	v_add_f64 v[96:97], v[96:97], -v[100:101]
	v_fma_f64 v[100:101], v[98:99], s[14:15], -v[94:95]
	v_fma_f64 v[94:95], v[98:99], s[14:15], v[94:95]
	v_add_f64 v[145:146], v[100:101], v[110:111]
	v_mul_f64 v[100:101], v[96:97], s[16:17]
	v_add_f64 v[94:95], v[94:95], v[102:103]
	v_fma_f64 v[104:105], v[108:109], s[14:15], v[100:101]
	v_fma_f64 v[100:101], v[108:109], s[14:15], -v[100:101]
	v_add_f64 v[147:148], v[104:105], v[116:117]
	v_add_f64 v[149:150], v[100:101], v[112:113]
	v_mul_f64 v[100:101], v[88:89], s[34:35]
	v_fma_f64 v[102:103], v[98:99], s[0:1], -v[100:101]
	v_fma_f64 v[100:101], v[98:99], s[0:1], v[100:101]
	v_add_f64 v[151:152], v[102:103], v[118:119]
	v_mul_f64 v[102:103], v[96:97], s[34:35]
	v_add_f64 v[153:154], v[100:101], v[114:115]
	v_fma_f64 v[100:101], v[108:109], s[0:1], -v[102:103]
	v_fma_f64 v[104:105], v[108:109], s[0:1], v[102:103]
	v_add_f64 v[155:156], v[100:101], v[120:121]
	v_mul_f64 v[100:101], v[88:89], s[18:19]
	v_add_f64 v[125:126], v[104:105], v[125:126]
	;; [unrolled: 5-line block ×3, first 2 shown]
	v_fma_f64 v[100:101], v[108:109], s[12:13], -v[102:103]
	v_fma_f64 v[104:105], v[108:109], s[12:13], v[102:103]
	v_add_f64 v[118:119], v[100:101], v[129:130]
	v_mul_f64 v[100:101], v[88:89], s[20:21]
	v_mul_f64 v[88:89], v[88:89], s[24:25]
	v_add_f64 v[131:132], v[104:105], v[131:132]
	v_fma_f64 v[102:103], v[98:99], s[22:23], -v[100:101]
	v_fma_f64 v[100:101], v[98:99], s[22:23], v[100:101]
	v_add_f64 v[114:115], v[102:103], v[135:136]
	v_mul_f64 v[102:103], v[96:97], s[20:21]
	v_add_f64 v[112:113], v[100:101], v[133:134]
	v_mul_f64 v[96:97], v[96:97], s[24:25]
	v_add_f64 v[133:134], v[84:85], -v[86:87]
	v_fma_f64 v[100:101], v[108:109], s[22:23], -v[102:103]
	v_fma_f64 v[104:105], v[108:109], s[22:23], v[102:103]
	v_add_f64 v[102:103], v[90:91], v[92:93]
	v_mul_f64 v[129:130], v[133:134], s[16:17]
	v_add_f64 v[110:111], v[100:101], v[137:138]
	v_fma_f64 v[100:101], v[98:99], s[4:5], -v[88:89]
	v_fma_f64 v[88:89], v[98:99], s[4:5], v[88:89]
	v_add_f64 v[116:117], v[104:105], v[139:140]
	v_fma_f64 v[123:124], v[102:103], s[14:15], -v[129:130]
	v_add_f64 v[98:99], v[84:85], v[86:87]
	v_mul_f64 v[84:85], v[133:134], s[20:21]
	v_add_f64 v[106:107], v[100:101], v[141:142]
	v_fma_f64 v[100:101], v[108:109], s[4:5], v[96:97]
	v_add_f64 v[123:124], v[123:124], v[127:128]
	v_fma_f64 v[127:128], v[102:103], s[14:15], v[129:130]
	v_add_f64 v[104:105], v[100:101], v[143:144]
	v_add_f64 v[100:101], v[88:89], v[80:81]
	v_fma_f64 v[80:81], v[108:109], s[4:5], -v[96:97]
	v_add_f64 v[108:109], v[90:91], -v[92:93]
	v_add_f64 v[127:128], v[127:128], v[120:121]
	v_mul_f64 v[92:93], v[133:134], s[26:27]
	v_add_f64 v[96:97], v[80:81], v[82:83]
	v_mul_f64 v[135:136], v[108:109], s[16:17]
	v_fma_f64 v[80:81], v[102:103], s[22:23], -v[84:85]
	v_fma_f64 v[84:85], v[102:103], s[22:23], v[84:85]
	v_mul_f64 v[86:87], v[108:109], s[20:21]
	v_fma_f64 v[88:89], v[102:103], s[12:13], -v[92:93]
	v_fma_f64 v[92:93], v[102:103], s[12:13], v[92:93]
	v_fma_f64 v[120:121], v[98:99], s[14:15], -v[135:136]
	v_add_f64 v[80:81], v[80:81], v[145:146]
	v_add_f64 v[84:85], v[84:85], v[94:95]
	v_mul_f64 v[94:95], v[108:109], s[26:27]
	v_fma_f64 v[82:83], v[98:99], s[22:23], v[86:87]
	v_fma_f64 v[86:87], v[98:99], s[22:23], -v[86:87]
	v_add_f64 v[88:89], v[88:89], v[151:152]
	v_add_f64 v[92:93], v[92:93], v[153:154]
	;; [unrolled: 1-line block ×3, first 2 shown]
	v_mul_f64 v[118:119], v[133:134], s[24:25]
	v_fma_f64 v[90:91], v[98:99], s[12:13], v[94:95]
	v_fma_f64 v[94:95], v[98:99], s[12:13], -v[94:95]
	v_add_f64 v[82:83], v[82:83], v[147:148]
	v_add_f64 v[86:87], v[86:87], v[149:150]
	v_fma_f64 v[120:121], v[102:103], s[4:5], -v[118:119]
	v_fma_f64 v[118:119], v[102:103], s[4:5], v[118:119]
	v_add_f64 v[90:91], v[90:91], v[125:126]
	v_fma_f64 v[125:126], v[98:99], s[14:15], v[135:136]
	v_add_f64 v[94:95], v[94:95], v[155:156]
	v_add_f64 v[114:115], v[120:121], v[114:115]
	v_mul_f64 v[120:121], v[108:109], s[24:25]
	v_add_f64 v[118:119], v[118:119], v[112:113]
	v_add_f64 v[125:126], v[125:126], v[131:132]
	v_fma_f64 v[112:113], v[98:99], s[4:5], -v[120:121]
	v_fma_f64 v[131:132], v[98:99], s[4:5], v[120:121]
	v_add_f64 v[120:121], v[112:113], v[110:111]
	v_mul_f64 v[110:111], v[133:134], s[2:3]
	v_add_f64 v[116:117], v[131:132], v[116:117]
	v_fma_f64 v[112:113], v[102:103], s[0:1], -v[110:111]
	v_fma_f64 v[102:103], v[102:103], s[0:1], v[110:111]
	v_add_f64 v[106:107], v[112:113], v[106:107]
	v_mul_f64 v[112:113], v[108:109], s[2:3]
	v_add_f64 v[100:101], v[102:103], v[100:101]
	v_fma_f64 v[108:109], v[98:99], s[0:1], v[112:113]
	v_fma_f64 v[98:99], v[98:99], s[0:1], -v[112:113]
	v_add_f64 v[108:109], v[108:109], v[104:105]
	v_add_f64 v[102:103], v[98:99], v[96:97]
	v_lshrrev_b32_e32 v96, 2, v170
	v_mul_u32_u24_e32 v96, 44, v96
	v_or_b32_e32 v96, v96, v122
	v_lshlrev_b32_e32 v174, 4, v96
	ds_write_b128 v174, v[76:79]
	ds_write_b128 v174, v[80:83] offset:64
	ds_write_b128 v174, v[88:91] offset:128
	;; [unrolled: 1-line block ×10, first 2 shown]
	s_waitcnt lgkmcnt(0)
	s_barrier
	buffer_gl0_inv
	ds_read_b128 v[116:119], v169
	ds_read_b128 v[76:79], v169 offset:704
	ds_read_b128 v[80:83], v169 offset:1408
	;; [unrolled: 1-line block ×10, first 2 shown]
	s_clause 0x3
	global_load_dwordx4 v[84:87], v[179:180], off offset:688
	global_load_dwordx4 v[88:91], v[179:180], off offset:672
	;; [unrolled: 1-line block ×4, first 2 shown]
	s_waitcnt vmcnt(0) lgkmcnt(9)
	v_mul_f64 v[124:125], v[78:79], v[102:103]
	v_fma_f64 v[181:182], v[76:77], v[100:101], -v[124:125]
	v_mul_f64 v[76:77], v[76:77], v[102:103]
	v_fma_f64 v[183:184], v[78:79], v[100:101], v[76:77]
	s_waitcnt lgkmcnt(8)
	v_mul_f64 v[76:77], v[82:83], v[94:95]
	v_fma_f64 v[148:149], v[80:81], v[92:93], -v[76:77]
	v_mul_f64 v[76:77], v[80:81], v[94:95]
	v_fma_f64 v[146:147], v[82:83], v[92:93], v[76:77]
	s_waitcnt lgkmcnt(7)
	;; [unrolled: 5-line block ×3, first 2 shown]
	v_mul_f64 v[76:77], v[106:107], v[86:87]
	v_fma_f64 v[136:137], v[104:105], v[84:85], -v[76:77]
	v_mul_f64 v[76:77], v[104:105], v[86:87]
	v_fma_f64 v[128:129], v[106:107], v[84:85], v[76:77]
	s_clause 0x3
	global_load_dwordx4 v[76:79], v[179:180], off offset:752
	global_load_dwordx4 v[80:83], v[179:180], off offset:736
	global_load_dwordx4 v[96:99], v[179:180], off offset:720
	global_load_dwordx4 v[104:107], v[179:180], off offset:704
	s_waitcnt vmcnt(0) lgkmcnt(5)
	v_mul_f64 v[124:125], v[110:111], v[106:107]
	v_fma_f64 v[130:131], v[108:109], v[104:105], -v[124:125]
	v_mul_f64 v[108:109], v[108:109], v[106:107]
	v_fma_f64 v[124:125], v[110:111], v[104:105], v[108:109]
	s_waitcnt lgkmcnt(4)
	v_mul_f64 v[108:109], v[114:115], v[98:99]
	v_fma_f64 v[132:133], v[112:113], v[96:97], -v[108:109]
	v_mul_f64 v[108:109], v[112:113], v[98:99]
	v_fma_f64 v[126:127], v[114:115], v[96:97], v[108:109]
	s_waitcnt lgkmcnt(3)
	;; [unrolled: 5-line block ×3, first 2 shown]
	v_mul_f64 v[108:109], v[154:155], v[78:79]
	v_add_f64 v[122:123], v[118:119], v[183:184]
	v_fma_f64 v[150:151], v[152:153], v[76:77], -v[108:109]
	v_mul_f64 v[108:109], v[152:153], v[78:79]
	v_add_f64 v[122:123], v[122:123], v[146:147]
	v_fma_f64 v[144:145], v[154:155], v[76:77], v[108:109]
	s_clause 0x1
	global_load_dwordx4 v[112:115], v[179:180], off offset:784
	global_load_dwordx4 v[108:111], v[179:180], off offset:768
	v_add_f64 v[122:123], v[122:123], v[138:139]
	v_add_f64 v[122:123], v[122:123], v[128:129]
	;; [unrolled: 1-line block ×6, first 2 shown]
	s_waitcnt vmcnt(0) lgkmcnt(1)
	v_mul_f64 v[120:121], v[158:159], v[110:111]
	v_fma_f64 v[152:153], v[156:157], v[108:109], -v[120:121]
	v_mul_f64 v[120:121], v[156:157], v[110:111]
	v_fma_f64 v[154:155], v[158:159], v[108:109], v[120:121]
	s_waitcnt lgkmcnt(0)
	v_mul_f64 v[120:121], v[177:178], v[114:115]
	v_add_f64 v[122:123], v[122:123], v[154:155]
	v_fma_f64 v[156:157], v[175:176], v[112:113], -v[120:121]
	v_mul_f64 v[120:121], v[175:176], v[114:115]
	v_add_f64 v[175:176], v[181:182], v[156:157]
	v_fma_f64 v[158:159], v[177:178], v[112:113], v[120:121]
	v_add_f64 v[120:121], v[116:117], v[181:182]
	v_add_f64 v[122:123], v[122:123], v[158:159]
	v_add_f64 v[120:121], v[120:121], v[148:149]
	v_add_f64 v[177:178], v[183:184], v[158:159]
	v_add_f64 v[158:159], v[183:184], -v[158:159]
	v_add_f64 v[120:121], v[120:121], v[142:143]
	v_mul_f64 v[179:180], v[158:159], s[18:19]
	v_mul_f64 v[187:188], v[158:159], s[30:31]
	;; [unrolled: 1-line block ×5, first 2 shown]
	v_add_f64 v[120:121], v[120:121], v[136:137]
	v_fma_f64 v[189:190], v[175:176], s[4:5], -v[187:188]
	v_fma_f64 v[187:188], v[175:176], s[4:5], v[187:188]
	v_fma_f64 v[197:198], v[175:176], s[0:1], -v[195:196]
	v_fma_f64 v[195:196], v[175:176], s[0:1], v[195:196]
	;; [unrolled: 2-line block ×4, first 2 shown]
	v_add_f64 v[120:121], v[120:121], v[130:131]
	v_add_f64 v[189:190], v[116:117], v[189:190]
	;; [unrolled: 1-line block ×13, first 2 shown]
	v_add_f64 v[156:157], v[181:182], -v[156:157]
	v_fma_f64 v[181:182], v[175:176], s[12:13], -v[179:180]
	v_fma_f64 v[179:180], v[175:176], s[12:13], v[179:180]
	v_mul_f64 v[183:184], v[156:157], s[18:19]
	v_mul_f64 v[191:192], v[156:157], s[30:31]
	;; [unrolled: 1-line block ×5, first 2 shown]
	v_add_f64 v[181:182], v[116:117], v[181:182]
	v_add_f64 v[179:180], v[116:117], v[179:180]
	;; [unrolled: 1-line block ×4, first 2 shown]
	v_add_f64 v[146:147], v[146:147], -v[154:155]
	v_fma_f64 v[185:186], v[177:178], s[12:13], v[183:184]
	v_fma_f64 v[183:184], v[177:178], s[12:13], -v[183:184]
	v_fma_f64 v[193:194], v[177:178], s[4:5], v[191:192]
	v_fma_f64 v[191:192], v[177:178], s[4:5], -v[191:192]
	;; [unrolled: 2-line block ×5, first 2 shown]
	v_add_f64 v[185:186], v[118:119], v[185:186]
	v_add_f64 v[183:184], v[118:119], v[183:184]
	;; [unrolled: 1-line block ×11, first 2 shown]
	v_add_f64 v[148:149], v[148:149], -v[152:153]
	v_mul_f64 v[152:153], v[146:147], s[30:31]
	v_mul_f64 v[175:176], v[148:149], s[30:31]
	v_fma_f64 v[154:155], v[156:157], s[4:5], -v[152:153]
	v_fma_f64 v[152:153], v[156:157], s[4:5], v[152:153]
	v_fma_f64 v[177:178], v[158:159], s[4:5], v[175:176]
	v_add_f64 v[154:155], v[154:155], v[181:182]
	v_add_f64 v[152:153], v[152:153], v[179:180]
	v_mul_f64 v[179:180], v[146:147], s[16:17]
	v_fma_f64 v[175:176], v[158:159], s[4:5], -v[175:176]
	v_add_f64 v[177:178], v[177:178], v[185:186]
	v_fma_f64 v[181:182], v[156:157], s[14:15], -v[179:180]
	v_fma_f64 v[179:180], v[156:157], s[14:15], v[179:180]
	v_add_f64 v[175:176], v[175:176], v[183:184]
	v_mul_f64 v[183:184], v[148:149], s[16:17]
	v_add_f64 v[181:182], v[181:182], v[189:190]
	v_add_f64 v[179:180], v[179:180], v[187:188]
	v_mul_f64 v[187:188], v[146:147], s[36:37]
	v_fma_f64 v[185:186], v[158:159], s[14:15], v[183:184]
	v_fma_f64 v[183:184], v[158:159], s[14:15], -v[183:184]
	v_fma_f64 v[189:190], v[156:157], s[22:23], -v[187:188]
	v_fma_f64 v[187:188], v[156:157], s[22:23], v[187:188]
	v_add_f64 v[183:184], v[183:184], v[191:192]
	v_mul_f64 v[191:192], v[148:149], s[36:37]
	v_add_f64 v[185:186], v[185:186], v[193:194]
	v_add_f64 v[189:190], v[189:190], v[197:198]
	;; [unrolled: 1-line block ×3, first 2 shown]
	v_mul_f64 v[195:196], v[146:147], s[34:35]
	v_fma_f64 v[193:194], v[158:159], s[22:23], v[191:192]
	v_fma_f64 v[191:192], v[158:159], s[22:23], -v[191:192]
	v_mul_f64 v[146:147], v[146:147], s[26:27]
	v_fma_f64 v[197:198], v[156:157], s[0:1], -v[195:196]
	v_fma_f64 v[195:196], v[156:157], s[0:1], v[195:196]
	v_add_f64 v[191:192], v[191:192], v[199:200]
	v_mul_f64 v[199:200], v[148:149], s[34:35]
	v_mul_f64 v[148:149], v[148:149], s[26:27]
	v_add_f64 v[193:194], v[193:194], v[201:202]
	v_add_f64 v[197:198], v[197:198], v[205:206]
	;; [unrolled: 1-line block ×3, first 2 shown]
	v_fma_f64 v[203:204], v[156:157], s[12:13], -v[146:147]
	v_fma_f64 v[146:147], v[156:157], s[12:13], v[146:147]
	v_fma_f64 v[205:206], v[158:159], s[12:13], v[148:149]
	v_fma_f64 v[201:202], v[158:159], s[0:1], v[199:200]
	v_fma_f64 v[199:200], v[158:159], s[0:1], -v[199:200]
	v_add_f64 v[203:204], v[203:204], v[211:212]
	v_add_f64 v[116:117], v[146:147], v[116:117]
	v_fma_f64 v[146:147], v[158:159], s[12:13], -v[148:149]
	v_add_f64 v[148:149], v[138:139], v[144:145]
	v_add_f64 v[138:139], v[138:139], -v[144:145]
	v_add_f64 v[199:200], v[199:200], v[207:208]
	v_add_f64 v[205:206], v[205:206], v[213:214]
	;; [unrolled: 1-line block ×5, first 2 shown]
	v_mul_f64 v[144:145], v[138:139], s[2:3]
	v_add_f64 v[142:143], v[142:143], -v[150:151]
	v_fma_f64 v[150:151], v[146:147], s[0:1], -v[144:145]
	v_fma_f64 v[144:145], v[146:147], s[0:1], v[144:145]
	v_add_f64 v[150:151], v[150:151], v[154:155]
	v_mul_f64 v[154:155], v[142:143], s[2:3]
	v_add_f64 v[144:145], v[144:145], v[152:153]
	v_fma_f64 v[156:157], v[148:149], s[0:1], v[154:155]
	v_fma_f64 v[152:153], v[148:149], s[0:1], -v[154:155]
	v_mul_f64 v[154:155], v[138:139], s[36:37]
	v_add_f64 v[156:157], v[156:157], v[177:178]
	v_add_f64 v[152:153], v[152:153], v[175:176]
	v_fma_f64 v[158:159], v[146:147], s[22:23], -v[154:155]
	v_fma_f64 v[154:155], v[146:147], s[22:23], v[154:155]
	v_mul_f64 v[175:176], v[142:143], s[36:37]
	v_add_f64 v[158:159], v[158:159], v[181:182]
	v_add_f64 v[154:155], v[154:155], v[179:180]
	v_mul_f64 v[179:180], v[138:139], s[24:25]
	v_fma_f64 v[177:178], v[148:149], s[22:23], v[175:176]
	v_fma_f64 v[175:176], v[148:149], s[22:23], -v[175:176]
	v_fma_f64 v[181:182], v[146:147], s[4:5], -v[179:180]
	v_fma_f64 v[179:180], v[146:147], s[4:5], v[179:180]
	v_add_f64 v[175:176], v[175:176], v[183:184]
	v_mul_f64 v[183:184], v[142:143], s[24:25]
	v_add_f64 v[177:178], v[177:178], v[185:186]
	v_add_f64 v[181:182], v[181:182], v[189:190]
	;; [unrolled: 1-line block ×3, first 2 shown]
	v_mul_f64 v[187:188], v[138:139], s[18:19]
	v_fma_f64 v[185:186], v[148:149], s[4:5], v[183:184]
	v_fma_f64 v[183:184], v[148:149], s[4:5], -v[183:184]
	v_mul_f64 v[138:139], v[138:139], s[16:17]
	v_fma_f64 v[189:190], v[146:147], s[12:13], -v[187:188]
	v_fma_f64 v[187:188], v[146:147], s[12:13], v[187:188]
	v_add_f64 v[183:184], v[183:184], v[191:192]
	v_mul_f64 v[191:192], v[142:143], s[18:19]
	v_mul_f64 v[142:143], v[142:143], s[16:17]
	v_add_f64 v[185:186], v[185:186], v[193:194]
	v_add_f64 v[189:190], v[189:190], v[197:198]
	;; [unrolled: 1-line block ×3, first 2 shown]
	v_fma_f64 v[195:196], v[146:147], s[14:15], -v[138:139]
	v_fma_f64 v[138:139], v[146:147], s[14:15], v[138:139]
	v_fma_f64 v[197:198], v[148:149], s[14:15], v[142:143]
	;; [unrolled: 1-line block ×3, first 2 shown]
	v_fma_f64 v[191:192], v[148:149], s[12:13], -v[191:192]
	v_add_f64 v[195:196], v[195:196], v[203:204]
	v_add_f64 v[116:117], v[138:139], v[116:117]
	v_fma_f64 v[138:139], v[148:149], s[14:15], -v[142:143]
	v_add_f64 v[142:143], v[128:129], v[134:135]
	v_add_f64 v[128:129], v[128:129], -v[134:135]
	v_add_f64 v[191:192], v[191:192], v[199:200]
	v_add_f64 v[197:198], v[197:198], v[205:206]
	;; [unrolled: 1-line block ×5, first 2 shown]
	v_mul_f64 v[134:135], v[128:129], s[16:17]
	v_add_f64 v[136:137], v[136:137], -v[140:141]
	v_fma_f64 v[140:141], v[138:139], s[14:15], -v[134:135]
	v_fma_f64 v[134:135], v[138:139], s[14:15], v[134:135]
	v_add_f64 v[199:200], v[140:141], v[150:151]
	v_mul_f64 v[140:141], v[136:137], s[16:17]
	v_add_f64 v[203:204], v[134:135], v[144:145]
	v_fma_f64 v[134:135], v[142:143], s[14:15], -v[140:141]
	v_fma_f64 v[146:147], v[142:143], s[14:15], v[140:141]
	v_add_f64 v[205:206], v[134:135], v[152:153]
	v_mul_f64 v[134:135], v[128:129], s[34:35]
	v_add_f64 v[201:202], v[146:147], v[156:157]
	v_add_f64 v[146:147], v[130:131], v[132:133]
	v_add_f64 v[152:153], v[130:131], -v[132:133]
	v_fma_f64 v[140:141], v[138:139], s[0:1], -v[134:135]
	v_fma_f64 v[134:135], v[138:139], s[0:1], v[134:135]
	v_add_f64 v[158:159], v[140:141], v[158:159]
	v_mul_f64 v[140:141], v[136:137], s[34:35]
	v_add_f64 v[207:208], v[134:135], v[154:155]
	v_fma_f64 v[134:135], v[142:143], s[0:1], -v[140:141]
	v_fma_f64 v[144:145], v[142:143], s[0:1], v[140:141]
	v_add_f64 v[175:176], v[134:135], v[175:176]
	v_mul_f64 v[134:135], v[128:129], s[18:19]
	v_add_f64 v[177:178], v[144:145], v[177:178]
	;; [unrolled: 5-line block ×3, first 2 shown]
	v_fma_f64 v[134:135], v[142:143], s[12:13], -v[140:141]
	v_fma_f64 v[144:145], v[142:143], s[12:13], v[140:141]
	v_add_f64 v[183:184], v[134:135], v[183:184]
	v_mul_f64 v[134:135], v[128:129], s[20:21]
	v_mul_f64 v[128:129], v[128:129], s[24:25]
	v_add_f64 v[185:186], v[144:145], v[185:186]
	v_fma_f64 v[140:141], v[138:139], s[22:23], -v[134:135]
	v_fma_f64 v[134:135], v[138:139], s[22:23], v[134:135]
	v_add_f64 v[189:190], v[140:141], v[189:190]
	v_mul_f64 v[140:141], v[136:137], s[20:21]
	v_add_f64 v[156:157], v[134:135], v[187:188]
	v_add_f64 v[187:188], v[124:125], -v[126:127]
	v_fma_f64 v[134:135], v[142:143], s[22:23], -v[140:141]
	v_fma_f64 v[144:145], v[142:143], s[22:23], v[140:141]
	v_add_f64 v[154:155], v[134:135], v[191:192]
	v_fma_f64 v[134:135], v[138:139], s[4:5], -v[128:129]
	v_fma_f64 v[128:129], v[138:139], s[4:5], v[128:129]
	v_add_f64 v[193:194], v[144:145], v[193:194]
	v_add_f64 v[150:151], v[134:135], v[195:196]
	v_mul_f64 v[134:135], v[136:137], s[24:25]
	v_add_f64 v[144:145], v[128:129], v[116:117]
	v_fma_f64 v[116:117], v[142:143], s[4:5], -v[134:135]
	v_fma_f64 v[136:137], v[142:143], s[4:5], v[134:135]
	v_add_f64 v[142:143], v[124:125], v[126:127]
	v_add_f64 v[140:141], v[116:117], v[118:119]
	v_mul_f64 v[116:117], v[187:188], s[20:21]
	v_add_f64 v[148:149], v[136:137], v[197:198]
	v_fma_f64 v[118:119], v[146:147], s[22:23], -v[116:117]
	v_fma_f64 v[116:117], v[146:147], s[22:23], v[116:117]
	v_add_f64 v[132:133], v[118:119], v[199:200]
	v_mul_f64 v[118:119], v[152:153], s[20:21]
	v_add_f64 v[116:117], v[116:117], v[203:204]
	v_fma_f64 v[124:125], v[142:143], s[22:23], v[118:119]
	v_fma_f64 v[118:119], v[142:143], s[22:23], -v[118:119]
	v_add_f64 v[134:135], v[124:125], v[201:202]
	v_mul_f64 v[124:125], v[187:188], s[26:27]
	v_add_f64 v[118:119], v[118:119], v[205:206]
	v_fma_f64 v[126:127], v[146:147], s[12:13], -v[124:125]
	v_fma_f64 v[124:125], v[146:147], s[12:13], v[124:125]
	v_add_f64 v[136:137], v[126:127], v[158:159]
	v_mul_f64 v[126:127], v[152:153], s[26:27]
	v_add_f64 v[124:125], v[124:125], v[207:208]
	v_fma_f64 v[128:129], v[142:143], s[12:13], v[126:127]
	v_fma_f64 v[126:127], v[142:143], s[12:13], -v[126:127]
	;; [unrolled: 10-line block ×3, first 2 shown]
	v_add_f64 v[177:178], v[158:159], v[185:186]
	v_mul_f64 v[158:159], v[187:188], s[24:25]
	v_add_f64 v[130:131], v[130:131], v[183:184]
	v_mul_f64 v[183:184], v[152:153], s[24:25]
	v_fma_f64 v[179:180], v[146:147], s[4:5], -v[158:159]
	v_fma_f64 v[158:159], v[146:147], s[4:5], v[158:159]
	v_fma_f64 v[181:182], v[142:143], s[4:5], v[183:184]
	v_add_f64 v[179:180], v[179:180], v[189:190]
	v_add_f64 v[156:157], v[158:159], v[156:157]
	v_fma_f64 v[158:159], v[142:143], s[4:5], -v[183:184]
	v_add_f64 v[181:182], v[181:182], v[193:194]
	v_add_f64 v[158:159], v[158:159], v[154:155]
	v_mul_f64 v[154:155], v[187:188], s[2:3]
	v_fma_f64 v[183:184], v[146:147], s[0:1], -v[154:155]
	v_fma_f64 v[146:147], v[146:147], s[0:1], v[154:155]
	v_add_f64 v[150:151], v[183:184], v[150:151]
	v_mul_f64 v[183:184], v[152:153], s[2:3]
	v_add_f64 v[144:145], v[146:147], v[144:145]
	v_fma_f64 v[152:153], v[142:143], s[0:1], v[183:184]
	v_fma_f64 v[142:143], v[142:143], s[0:1], -v[183:184]
	v_add_f64 v[152:153], v[152:153], v[148:149]
	v_add_f64 v[146:147], v[142:143], v[140:141]
	ds_write_b128 v169, v[120:123]
	ds_write_b128 v169, v[132:135] offset:704
	ds_write_b128 v169, v[136:139] offset:1408
	;; [unrolled: 1-line block ×10, first 2 shown]
	s_waitcnt lgkmcnt(0)
	s_barrier
	buffer_gl0_inv
	global_load_dwordx4 v[136:139], v[167:168], off offset:1600
	ds_read_b128 v[132:135], v169
	v_add_co_u32 v120, s0, 0x1e40, v160
	v_add_co_ci_u32_e64 v121, s0, 0, v161, s0
	s_waitcnt vmcnt(0) lgkmcnt(0)
	v_mul_f64 v[122:123], v[134:135], v[138:139]
	v_fma_f64 v[140:141], v[132:133], v[136:137], -v[122:123]
	v_mul_f64 v[122:123], v[132:133], v[138:139]
	v_fma_f64 v[142:143], v[134:135], v[136:137], v[122:123]
	global_load_dwordx4 v[136:139], v[120:121], off offset:1936
	ds_read_b128 v[132:135], v169 offset:1936
	ds_write_b128 v169, v[140:143]
	s_waitcnt vmcnt(0) lgkmcnt(1)
	v_mul_f64 v[122:123], v[134:135], v[138:139]
	v_fma_f64 v[140:141], v[132:133], v[136:137], -v[122:123]
	v_mul_f64 v[122:123], v[132:133], v[138:139]
	v_fma_f64 v[142:143], v[134:135], v[136:137], v[122:123]
	v_add_co_u32 v122, s0, 0x2800, v160
	v_add_co_ci_u32_e64 v123, s0, 0, v161, s0
	ds_read_b128 v[132:135], v169 offset:3872
	v_add_co_u32 v144, s0, 0x3000, v160
	global_load_dwordx4 v[136:139], v[122:123], off offset:1376
	v_add_co_ci_u32_e64 v145, s0, 0, v161, s0
	ds_write_b128 v169, v[140:143] offset:1936
	s_waitcnt vmcnt(0) lgkmcnt(1)
	v_mul_f64 v[140:141], v[134:135], v[138:139]
	v_fma_f64 v[140:141], v[132:133], v[136:137], -v[140:141]
	v_mul_f64 v[132:133], v[132:133], v[138:139]
	v_fma_f64 v[142:143], v[134:135], v[136:137], v[132:133]
	global_load_dwordx4 v[136:139], v[144:145], off offset:1264
	ds_read_b128 v[132:135], v169 offset:5808
	ds_write_b128 v169, v[140:143] offset:3872
	s_waitcnt vmcnt(0) lgkmcnt(1)
	v_mul_f64 v[140:141], v[134:135], v[138:139]
	v_fma_f64 v[140:141], v[132:133], v[136:137], -v[140:141]
	v_mul_f64 v[132:133], v[132:133], v[138:139]
	v_fma_f64 v[142:143], v[134:135], v[136:137], v[132:133]
	global_load_dwordx4 v[136:139], v[120:121], off offset:704
	ds_read_b128 v[132:135], v169 offset:704
	;; [unrolled: 8-line block ×5, first 2 shown]
	ds_write_b128 v169, v[140:143] offset:4576
	s_waitcnt vmcnt(0) lgkmcnt(1)
	v_mul_f64 v[122:123], v[134:135], v[138:139]
	v_fma_f64 v[140:141], v[132:133], v[136:137], -v[122:123]
	v_mul_f64 v[122:123], v[132:133], v[138:139]
	v_fma_f64 v[142:143], v[134:135], v[136:137], v[122:123]
	ds_write_b128 v169, v[140:143] offset:6512
	s_and_saveexec_b32 s1, vcc_lo
	s_cbranch_execz .LBB0_9
; %bb.8:
	v_add_co_u32 v122, s0, 0x800, v120
	v_add_co_ci_u32_e64 v123, s0, 0, v121, s0
	v_add_co_u32 v136, s0, 0x1000, v120
	v_add_co_ci_u32_e64 v137, s0, 0, v121, s0
	v_add_co_u32 v140, s0, 0x1800, v120
	global_load_dwordx4 v[132:135], v[120:121], off offset:1408
	v_add_co_ci_u32_e64 v141, s0, 0, v121, s0
	s_clause 0x2
	global_load_dwordx4 v[120:123], v[122:123], off offset:1296
	global_load_dwordx4 v[136:139], v[136:137], off offset:1184
	;; [unrolled: 1-line block ×3, first 2 shown]
	ds_read_b128 v[144:147], v169 offset:1408
	ds_read_b128 v[148:151], v169 offset:3344
	;; [unrolled: 1-line block ×4, first 2 shown]
	s_waitcnt vmcnt(3) lgkmcnt(3)
	v_mul_f64 v[175:176], v[146:147], v[134:135]
	v_mul_f64 v[134:135], v[144:145], v[134:135]
	s_waitcnt vmcnt(2) lgkmcnt(2)
	v_mul_f64 v[177:178], v[150:151], v[122:123]
	v_mul_f64 v[122:123], v[148:149], v[122:123]
	;; [unrolled: 3-line block ×4, first 2 shown]
	v_fma_f64 v[142:143], v[144:145], v[132:133], -v[175:176]
	v_fma_f64 v[144:145], v[146:147], v[132:133], v[134:135]
	v_fma_f64 v[132:133], v[148:149], v[120:121], -v[177:178]
	v_fma_f64 v[134:135], v[150:151], v[120:121], v[122:123]
	;; [unrolled: 2-line block ×4, first 2 shown]
	ds_write_b128 v169, v[142:145] offset:1408
	ds_write_b128 v169, v[132:135] offset:3344
	;; [unrolled: 1-line block ×4, first 2 shown]
.LBB0_9:
	s_or_b32 exec_lo, exec_lo, s1
	s_waitcnt lgkmcnt(0)
	s_barrier
	buffer_gl0_inv
	ds_read_b128 v[120:123], v169
	ds_read_b128 v[132:135], v169 offset:704
	ds_read_b128 v[140:143], v169 offset:1936
	;; [unrolled: 1-line block ×7, first 2 shown]
	v_add_nc_u32_e32 v173, 0xb00, v173
	s_and_saveexec_b32 s0, vcc_lo
	s_cbranch_execz .LBB0_11
; %bb.10:
	ds_read_b128 v[128:131], v169 offset:1408
	ds_read_b128 v[124:127], v169 offset:3344
	;; [unrolled: 1-line block ×4, first 2 shown]
.LBB0_11:
	s_or_b32 exec_lo, exec_lo, s0
	s_waitcnt lgkmcnt(3)
	v_add_f64 v[156:157], v[120:121], -v[156:157]
	v_add_f64 v[158:159], v[122:123], -v[158:159]
	s_waitcnt lgkmcnt(1)
	v_add_f64 v[152:153], v[140:141], -v[152:153]
	v_add_f64 v[154:155], v[142:143], -v[154:155]
	;; [unrolled: 1-line block ×4, first 2 shown]
	s_waitcnt lgkmcnt(0)
	v_add_f64 v[144:145], v[136:137], -v[144:145]
	v_add_f64 v[146:147], v[138:139], -v[146:147]
	s_barrier
	buffer_gl0_inv
	v_fma_f64 v[175:176], v[120:121], 2.0, -v[156:157]
	v_fma_f64 v[177:178], v[122:123], 2.0, -v[158:159]
	;; [unrolled: 1-line block ×8, first 2 shown]
	v_add_f64 v[120:121], v[156:157], v[154:155]
	v_add_f64 v[122:123], v[158:159], -v[152:153]
	v_add_f64 v[132:133], v[148:149], v[146:147]
	v_add_f64 v[134:135], v[150:151], -v[144:145]
	v_add_f64 v[136:137], v[175:176], -v[140:141]
	;; [unrolled: 1-line block ×5, first 2 shown]
	v_fma_f64 v[144:145], v[156:157], 2.0, -v[120:121]
	v_fma_f64 v[146:147], v[158:159], 2.0, -v[122:123]
	;; [unrolled: 1-line block ×8, first 2 shown]
	ds_write_b128 v172, v[120:123] offset:48
	ds_write_b128 v172, v[144:147] offset:16
	ds_write_b128 v172, v[136:139] offset:32
	ds_write_b128 v173, v[148:151] offset:16
	ds_write_b128 v173, v[140:143] offset:32
	ds_write_b128 v172, v[152:155]
	ds_write_b128 v173, v[156:159]
	ds_write_b128 v173, v[132:135] offset:48
	s_and_saveexec_b32 s0, vcc_lo
	s_cbranch_execz .LBB0_13
; %bb.12:
	v_add_f64 v[120:121], v[130:131], -v[118:119]
	v_add_f64 v[118:119], v[126:127], -v[66:67]
	;; [unrolled: 1-line block ×4, first 2 shown]
	v_fma_f64 v[130:131], v[130:131], 2.0, -v[120:121]
	v_fma_f64 v[116:117], v[126:127], 2.0, -v[118:119]
	;; [unrolled: 1-line block ×4, first 2 shown]
	v_add_f64 v[66:67], v[120:121], -v[64:65]
	v_add_f64 v[64:65], v[132:133], v[118:119]
	v_add_f64 v[118:119], v[130:131], -v[116:117]
	v_add_f64 v[116:117], v[128:129], -v[122:123]
	v_fma_f64 v[122:123], v[120:121], 2.0, -v[66:67]
	v_fma_f64 v[120:121], v[132:133], 2.0, -v[64:65]
	;; [unrolled: 1-line block ×4, first 2 shown]
	ds_write_b128 v171, v[120:123] offset:16
	ds_write_b128 v171, v[116:119] offset:32
	ds_write_b128 v171, v[124:127]
	ds_write_b128 v171, v[64:67] offset:48
.LBB0_13:
	s_or_b32 exec_lo, exec_lo, s0
	s_waitcnt lgkmcnt(0)
	s_barrier
	buffer_gl0_inv
	ds_read_b128 v[116:119], v169 offset:704
	ds_read_b128 v[64:67], v169
	ds_read_b128 v[120:123], v169 offset:1408
	ds_read_b128 v[124:127], v169 offset:2112
	;; [unrolled: 1-line block ×9, first 2 shown]
	s_mov_b32 s2, 0xf8bb580b
	s_mov_b32 s4, 0x8764f0ba
	;; [unrolled: 1-line block ×9, first 2 shown]
	s_waitcnt lgkmcnt(10)
	v_mul_f64 v[156:157], v[58:59], v[118:119]
	v_mul_f64 v[58:59], v[58:59], v[116:117]
	s_waitcnt lgkmcnt(8)
	v_mul_f64 v[171:172], v[42:43], v[122:123]
	v_mul_f64 v[42:43], v[42:43], v[120:121]
	;; [unrolled: 3-line block ×3, first 2 shown]
	s_mov_b32 s16, 0xd9c712b6
	s_waitcnt lgkmcnt(3)
	v_mul_f64 v[181:182], v[50:51], v[142:143]
	s_waitcnt lgkmcnt(2)
	v_mul_f64 v[175:176], v[54:55], v[146:147]
	v_mul_f64 v[54:55], v[54:55], v[144:145]
	s_waitcnt lgkmcnt(0)
	v_mul_f64 v[158:159], v[70:71], v[152:153]
	v_mul_f64 v[50:51], v[50:51], v[140:141]
	s_mov_b32 s22, 0xbb3a28a1
	s_mov_b32 s26, 0x7f775887
	;; [unrolled: 1-line block ×10, first 2 shown]
	v_fma_f64 v[116:117], v[56:57], v[116:117], v[156:157]
	v_fma_f64 v[56:57], v[56:57], v[118:119], -v[58:59]
	v_mul_f64 v[58:59], v[70:71], v[154:155]
	v_mul_f64 v[70:71], v[74:75], v[150:151]
	;; [unrolled: 1-line block ×5, first 2 shown]
	v_fma_f64 v[120:121], v[40:41], v[120:121], v[171:172]
	v_fma_f64 v[40:41], v[40:41], v[122:123], -v[42:43]
	s_mov_b32 s35, 0xbfeeb42a
	v_fma_f64 v[34:35], v[68:69], v[154:155], -v[158:159]
	v_mul_f64 v[154:155], v[62:63], v[134:135]
	v_mul_f64 v[62:63], v[62:63], v[132:133]
	;; [unrolled: 1-line block ×4, first 2 shown]
	s_mov_b32 s0, s2
	s_mov_b32 s25, 0x3fefac9e
	s_mov_b32 s24, s18
	s_mov_b32 s36, s28
	s_mov_b32 s15, 0x3fed1bb4
	s_mov_b32 s31, 0x3fe82f19
	s_mov_b32 s14, s12
	v_add_f64 v[42:43], v[64:65], v[116:117]
	v_add_f64 v[122:123], v[66:67], v[56:57]
	v_fma_f64 v[38:39], v[68:69], v[152:153], v[58:59]
	v_fma_f64 v[58:59], v[72:73], v[148:149], v[70:71]
	v_fma_f64 v[68:69], v[72:73], v[150:151], -v[74:75]
	v_fma_f64 v[70:71], v[36:37], v[124:125], v[118:119]
	v_fma_f64 v[36:37], v[36:37], v[126:127], -v[156:157]
	;; [unrolled: 2-line block ×6, first 2 shown]
	v_add_f64 v[50:51], v[56:57], -v[34:35]
	v_add_f64 v[56:57], v[56:57], v[34:35]
	v_fma_f64 v[62:63], v[44:45], v[136:137], v[158:159]
	v_fma_f64 v[44:45], v[44:45], v[138:139], -v[46:47]
	s_mov_b32 s30, s22
	s_barrier
	v_add_f64 v[42:43], v[42:43], v[120:121]
	v_add_f64 v[122:123], v[122:123], v[40:41]
	;; [unrolled: 1-line block ×3, first 2 shown]
	v_add_f64 v[116:117], v[116:117], -v[38:39]
	v_add_f64 v[126:127], v[40:41], -v[68:69]
	v_add_f64 v[40:41], v[40:41], v[68:69]
	v_add_f64 v[124:125], v[120:121], v[58:59]
	v_add_f64 v[128:129], v[70:71], v[72:73]
	v_add_f64 v[130:131], v[36:37], v[52:53]
	v_add_f64 v[134:135], v[36:37], -v[52:53]
	v_add_f64 v[132:133], v[70:71], -v[72:73]
	;; [unrolled: 1-line block ×3, first 2 shown]
	v_add_f64 v[138:139], v[32:33], v[48:49]
	v_add_f64 v[140:141], v[32:33], -v[48:49]
	v_add_f64 v[136:137], v[54:55], v[74:75]
	v_mul_f64 v[142:143], v[50:51], s[2:3]
	v_mul_f64 v[144:145], v[56:57], s[4:5]
	v_mul_f64 v[146:147], v[50:51], s[12:13]
	v_mul_f64 v[148:149], v[56:57], s[16:17]
	v_mul_f64 v[150:151], v[50:51], s[22:23]
	v_mul_f64 v[152:153], v[56:57], s[26:27]
	buffer_gl0_inv
	v_add_f64 v[42:43], v[42:43], v[70:71]
	v_add_f64 v[36:37], v[122:123], v[36:37]
	v_mul_f64 v[70:71], v[50:51], s[18:19]
	v_mul_f64 v[122:123], v[56:57], s[20:21]
	;; [unrolled: 1-line block ×13, first 2 shown]
	v_fma_f64 v[197:198], v[46:47], s[4:5], v[142:143]
	v_fma_f64 v[199:200], v[116:117], s[0:1], v[144:145]
	v_mul_f64 v[40:41], v[40:41], s[4:5]
	v_mul_f64 v[183:184], v[134:135], s[18:19]
	v_mul_f64 v[185:186], v[130:131], s[20:21]
	v_fma_f64 v[142:143], v[46:47], s[4:5], -v[142:143]
	v_fma_f64 v[144:145], v[116:117], s[2:3], v[144:145]
	v_add_f64 v[42:43], v[42:43], v[54:55]
	v_add_f64 v[32:33], v[36:37], v[32:33]
	v_fma_f64 v[205:206], v[46:47], s[20:21], v[70:71]
	v_fma_f64 v[207:208], v[116:117], s[24:25], v[122:123]
	v_fma_f64 v[70:71], v[46:47], s[20:21], -v[70:71]
	v_fma_f64 v[122:123], v[116:117], s[18:19], v[122:123]
	v_fma_f64 v[201:202], v[46:47], s[16:17], v[146:147]
	v_fma_f64 v[203:204], v[116:117], s[14:15], v[148:149]
	v_fma_f64 v[146:147], v[46:47], s[16:17], -v[146:147]
	v_fma_f64 v[148:149], v[116:117], s[12:13], v[148:149]
	;; [unrolled: 4-line block ×4, first 2 shown]
	v_fma_f64 v[56:57], v[124:125], s[16:17], v[154:155]
	v_fma_f64 v[116:117], v[120:121], s[14:15], v[156:157]
	v_add_f64 v[197:198], v[64:65], v[197:198]
	v_add_f64 v[199:200], v[66:67], v[199:200]
	v_add_f64 v[42:43], v[42:43], v[118:119]
	v_add_f64 v[32:33], v[32:33], v[60:61]
	v_mul_f64 v[36:37], v[134:135], s[14:15]
	v_mul_f64 v[191:192], v[130:131], s[16:17]
	v_fma_f64 v[221:222], v[124:125], s[34:35], v[175:176]
	v_fma_f64 v[223:224], v[120:121], s[28:29], v[177:178]
	v_fma_f64 v[175:176], v[124:125], s[34:35], -v[175:176]
	v_fma_f64 v[177:178], v[120:121], s[36:37], v[177:178]
	v_add_f64 v[70:71], v[64:65], v[70:71]
	v_add_f64 v[122:123], v[66:67], v[122:123]
	v_mul_f64 v[193:194], v[134:135], s[2:3]
	v_fma_f64 v[154:155], v[124:125], s[16:17], -v[154:155]
	v_fma_f64 v[156:157], v[120:121], s[12:13], v[156:157]
	v_fma_f64 v[217:218], v[124:125], s[26:27], v[158:159]
	v_fma_f64 v[219:220], v[120:121], s[30:31], v[171:172]
	v_fma_f64 v[158:159], v[124:125], s[26:27], -v[158:159]
	v_fma_f64 v[171:172], v[120:121], s[22:23], v[171:172]
	v_fma_f64 v[225:226], v[124:125], s[20:21], v[179:180]
	;; [unrolled: 1-line block ×3, first 2 shown]
	v_fma_f64 v[179:180], v[124:125], s[20:21], -v[179:180]
	v_fma_f64 v[181:182], v[120:121], s[24:25], v[181:182]
	v_fma_f64 v[229:230], v[124:125], s[4:5], v[126:127]
	v_add_f64 v[42:43], v[42:43], v[62:63]
	v_add_f64 v[32:33], v[32:33], v[44:45]
	v_fma_f64 v[231:232], v[120:121], s[2:3], v[40:41]
	v_fma_f64 v[124:125], v[124:125], s[4:5], -v[126:127]
	v_fma_f64 v[40:41], v[120:121], s[0:1], v[40:41]
	v_fma_f64 v[120:121], v[128:129], s[20:21], v[183:184]
	v_fma_f64 v[126:127], v[132:133], s[24:25], v[185:186]
	v_add_f64 v[146:147], v[64:65], v[146:147]
	v_add_f64 v[148:149], v[66:67], v[148:149]
	;; [unrolled: 1-line block ×6, first 2 shown]
	v_mul_f64 v[187:188], v[134:135], s[36:37]
	v_mul_f64 v[195:196], v[130:131], s[4:5]
	;; [unrolled: 1-line block ×4, first 2 shown]
	v_fma_f64 v[237:238], v[128:129], s[16:17], v[36:37]
	v_fma_f64 v[239:240], v[132:133], s[12:13], v[191:192]
	v_fma_f64 v[36:37], v[128:129], s[16:17], -v[36:37]
	v_fma_f64 v[191:192], v[132:133], s[14:15], v[191:192]
	v_add_f64 v[152:153], v[66:67], v[152:153]
	v_add_f64 v[42:43], v[42:43], v[74:75]
	;; [unrolled: 1-line block ×15, first 2 shown]
	v_mul_f64 v[130:131], v[130:131], s[26:27]
	v_fma_f64 v[185:186], v[132:133], s[18:19], v[185:186]
	v_add_f64 v[40:41], v[40:41], v[50:51]
	v_add_f64 v[50:51], v[120:121], v[56:57]
	v_fma_f64 v[183:184], v[128:129], s[20:21], -v[183:184]
	v_fma_f64 v[233:234], v[128:129], s[34:35], v[187:188]
	v_add_f64 v[213:214], v[66:67], v[215:216]
	v_mul_f64 v[120:121], v[140:141], s[24:25]
	v_add_f64 v[42:43], v[42:43], v[72:73]
	v_add_f64 v[32:33], v[32:33], v[52:53]
	;; [unrolled: 1-line block ×6, first 2 shown]
	v_fma_f64 v[235:236], v[132:133], s[28:29], v[189:190]
	v_fma_f64 v[187:188], v[128:129], s[34:35], -v[187:188]
	v_add_f64 v[148:149], v[225:226], v[207:208]
	v_add_f64 v[154:155], v[227:228], v[209:210]
	v_add_f64 v[72:73], v[219:220], v[201:202]
	v_add_f64 v[56:57], v[126:127], v[64:65]
	v_mul_f64 v[64:65], v[138:139], s[26:27]
	v_add_f64 v[116:117], v[158:159], v[146:147]
	v_add_f64 v[46:47], v[124:125], v[46:47]
	v_mul_f64 v[124:125], v[138:139], s[20:21]
	v_fma_f64 v[189:190], v[132:133], s[36:37], v[189:190]
	v_add_f64 v[150:151], v[179:180], v[150:151]
	v_add_f64 v[152:153], v[181:182], v[152:153]
	v_fma_f64 v[126:127], v[128:129], s[4:5], -v[193:194]
	v_fma_f64 v[171:172], v[132:133], s[2:3], v[195:196]
	v_add_f64 v[36:37], v[36:37], v[70:71]
	v_add_f64 v[42:43], v[42:43], v[58:59]
	;; [unrolled: 1-line block ×3, first 2 shown]
	v_add_f64 v[32:33], v[54:55], -v[74:75]
	v_fma_f64 v[68:69], v[128:129], s[4:5], v[193:194]
	v_mul_f64 v[54:55], v[140:141], s[22:23]
	v_fma_f64 v[74:75], v[132:133], s[0:1], v[195:196]
	v_add_f64 v[70:71], v[191:192], v[122:123]
	v_fma_f64 v[122:123], v[128:129], s[26:27], -v[134:135]
	v_add_f64 v[144:145], v[221:222], v[203:204]
	v_fma_f64 v[175:176], v[128:129], s[26:27], v[134:135]
	v_mul_f64 v[134:135], v[140:141], s[2:3]
	v_add_f64 v[146:147], v[223:224], v[205:206]
	v_add_f64 v[52:53], v[185:186], v[52:53]
	v_fma_f64 v[177:178], v[132:133], s[30:31], v[130:131]
	v_fma_f64 v[128:129], v[132:133], s[22:23], v[130:131]
	v_add_f64 v[48:49], v[183:184], v[48:49]
	v_add_f64 v[66:67], v[233:234], v[66:67]
	;; [unrolled: 1-line block ×7, first 2 shown]
	v_mul_f64 v[152:153], v[140:141], s[28:29]
	v_mul_f64 v[171:172], v[138:139], s[34:35]
	v_fma_f64 v[132:133], v[32:33], s[30:31], v[64:65]
	v_add_f64 v[68:69], v[68:69], v[148:149]
	v_fma_f64 v[64:65], v[32:33], s[22:23], v[64:65]
	v_mul_f64 v[148:149], v[138:139], s[4:5]
	v_fma_f64 v[130:131], v[136:137], s[26:27], v[54:55]
	v_add_f64 v[74:75], v[74:75], v[154:155]
	v_fma_f64 v[54:55], v[136:137], s[26:27], -v[54:55]
	v_fma_f64 v[154:155], v[136:137], s[20:21], v[120:121]
	v_fma_f64 v[179:180], v[32:33], s[18:19], v[124:125]
	v_fma_f64 v[120:121], v[136:137], s[20:21], -v[120:121]
	v_fma_f64 v[124:125], v[32:33], s[24:25], v[124:125]
	v_mul_f64 v[140:141], v[140:141], s[14:15]
	v_mul_f64 v[138:139], v[138:139], s[16:17]
	v_add_f64 v[46:47], v[122:123], v[46:47]
	v_add_f64 v[122:123], v[60:61], -v[44:45]
	v_add_f64 v[44:45], v[60:61], v[44:45]
	v_add_f64 v[156:157], v[229:230], v[211:212]
	;; [unrolled: 1-line block ×3, first 2 shown]
	v_fma_f64 v[60:61], v[136:137], s[4:5], v[134:135]
	v_add_f64 v[158:159], v[231:232], v[213:214]
	v_add_f64 v[146:147], v[239:240], v[146:147]
	;; [unrolled: 1-line block ×4, first 2 shown]
	v_fma_f64 v[132:133], v[136:137], s[34:35], -v[152:153]
	v_add_f64 v[128:129], v[64:65], v[52:53]
	v_fma_f64 v[52:53], v[32:33], s[0:1], v[148:149]
	v_add_f64 v[50:51], v[130:131], v[50:51]
	v_fma_f64 v[130:131], v[32:33], s[36:37], v[171:172]
	v_add_f64 v[48:49], v[54:55], v[48:49]
	v_add_f64 v[54:55], v[154:155], v[66:67]
	v_fma_f64 v[66:67], v[136:137], s[4:5], -v[134:135]
	v_add_f64 v[64:65], v[179:180], v[72:73]
	v_add_f64 v[72:73], v[120:121], v[116:117]
	v_fma_f64 v[120:121], v[32:33], s[2:3], v[148:149]
	v_add_f64 v[116:117], v[124:125], v[142:143]
	v_fma_f64 v[124:125], v[136:137], s[34:35], v[152:153]
	v_fma_f64 v[134:135], v[32:33], s[28:29], v[171:172]
	v_fma_f64 v[142:143], v[136:137], s[16:17], v[140:141]
	v_fma_f64 v[148:149], v[32:33], s[12:13], v[138:139]
	v_fma_f64 v[136:137], v[136:137], s[16:17], -v[140:141]
	v_fma_f64 v[32:33], v[32:33], s[14:15], v[138:139]
	v_add_f64 v[138:139], v[118:119], v[62:63]
	v_add_f64 v[62:63], v[118:119], -v[62:63]
	v_mul_f64 v[118:119], v[122:123], s[28:29]
	v_mul_f64 v[140:141], v[44:45], s[34:35]
	v_add_f64 v[156:157], v[175:176], v[156:157]
	v_add_f64 v[60:61], v[60:61], v[144:145]
	v_mul_f64 v[144:145], v[122:123], s[0:1]
	v_mul_f64 v[152:153], v[44:45], s[4:5]
	v_add_f64 v[158:159], v[177:178], v[158:159]
	v_add_f64 v[146:147], v[52:53], v[146:147]
	v_mul_f64 v[52:53], v[122:123], s[22:23]
	v_mul_f64 v[154:155], v[44:45], s[26:27]
	v_add_f64 v[66:67], v[66:67], v[36:37]
	v_mul_f64 v[36:37], v[122:123], s[14:15]
	v_mul_f64 v[171:172], v[44:45], s[16:17]
	;; [unrolled: 3-line block ×3, first 2 shown]
	v_add_f64 v[68:69], v[124:125], v[68:69]
	v_add_f64 v[122:123], v[132:133], v[126:127]
	v_add_f64 v[124:125], v[134:135], v[150:151]
	v_add_f64 v[132:133], v[136:137], v[46:47]
	v_add_f64 v[134:135], v[32:33], v[40:41]
	v_add_f64 v[74:75], v[130:131], v[74:75]
	v_fma_f64 v[40:41], v[138:139], s[34:35], v[118:119]
	v_fma_f64 v[46:47], v[62:63], s[36:37], v[140:141]
	v_add_f64 v[126:127], v[142:143], v[156:157]
	v_fma_f64 v[118:119], v[138:139], s[34:35], -v[118:119]
	v_fma_f64 v[136:137], v[138:139], s[4:5], v[144:145]
	v_fma_f64 v[142:143], v[62:63], s[2:3], v[152:153]
	v_add_f64 v[130:131], v[148:149], v[158:159]
	v_fma_f64 v[144:145], v[138:139], s[4:5], -v[144:145]
	v_fma_f64 v[148:149], v[138:139], s[26:27], v[52:53]
	v_fma_f64 v[150:151], v[62:63], s[30:31], v[154:155]
	v_fma_f64 v[156:157], v[138:139], s[26:27], -v[52:53]
	v_fma_f64 v[158:159], v[138:139], s[16:17], v[36:37]
	v_fma_f64 v[175:176], v[62:63], s[12:13], v[171:172]
	;; [unrolled: 3-line block ×4, first 2 shown]
	v_fma_f64 v[154:155], v[62:63], s[22:23], v[154:155]
	v_fma_f64 v[152:153], v[62:63], s[0:1], v[152:153]
	;; [unrolled: 1-line block ×3, first 2 shown]
	v_add_f64 v[32:33], v[42:43], v[38:39]
	v_add_f64 v[34:35], v[58:59], v[34:35]
	;; [unrolled: 1-line block ×22, first 2 shown]
	ds_write_b128 v174, v[32:35]
	ds_write_b128 v174, v[36:39] offset:64
	ds_write_b128 v174, v[44:47] offset:128
	;; [unrolled: 1-line block ×10, first 2 shown]
	s_waitcnt lgkmcnt(0)
	s_barrier
	buffer_gl0_inv
	ds_read_b128 v[32:35], v169 offset:704
	ds_read_b128 v[36:39], v169 offset:1408
	;; [unrolled: 1-line block ×3, first 2 shown]
	s_waitcnt lgkmcnt(2)
	v_mul_f64 v[44:45], v[102:103], v[34:35]
	v_mul_f64 v[48:49], v[102:103], v[32:33]
	s_waitcnt lgkmcnt(1)
	v_mul_f64 v[50:51], v[94:95], v[38:39]
	v_mul_f64 v[52:53], v[94:95], v[36:37]
	v_fma_f64 v[64:65], v[100:101], v[32:33], v[44:45]
	ds_read_b128 v[44:47], v169
	v_fma_f64 v[66:67], v[100:101], v[34:35], -v[48:49]
	v_fma_f64 v[68:69], v[92:93], v[36:37], v[50:51]
	s_waitcnt lgkmcnt(1)
	v_mul_f64 v[48:49], v[90:91], v[42:43]
	v_mul_f64 v[50:51], v[90:91], v[40:41]
	v_fma_f64 v[70:71], v[92:93], v[38:39], -v[52:53]
	ds_read_b128 v[32:35], v169 offset:2816
	ds_read_b128 v[36:39], v169 offset:3520
	s_waitcnt lgkmcnt(2)
	v_add_f64 v[52:53], v[44:45], v[64:65]
	v_add_f64 v[54:55], v[46:47], v[66:67]
	v_fma_f64 v[72:73], v[88:89], v[40:41], v[48:49]
	v_fma_f64 v[74:75], v[88:89], v[42:43], -v[50:51]
	s_waitcnt lgkmcnt(1)
	v_mul_f64 v[56:57], v[86:87], v[34:35]
	v_mul_f64 v[58:59], v[86:87], v[32:33]
	ds_read_b128 v[40:43], v169 offset:7040
	ds_read_b128 v[48:51], v169 offset:6336
	s_waitcnt lgkmcnt(2)
	v_mul_f64 v[86:87], v[106:107], v[38:39]
	v_mul_f64 v[88:89], v[106:107], v[36:37]
	v_add_f64 v[60:61], v[52:53], v[68:69]
	v_add_f64 v[62:63], v[54:55], v[70:71]
	ds_read_b128 v[52:55], v169 offset:4224
	s_waitcnt lgkmcnt(2)
	v_mul_f64 v[92:93], v[114:115], v[40:41]
	v_fma_f64 v[90:91], v[84:85], v[32:33], v[56:57]
	v_fma_f64 v[84:85], v[84:85], v[34:35], -v[58:59]
	s_waitcnt lgkmcnt(1)
	v_mul_f64 v[94:95], v[110:111], v[48:49]
	v_fma_f64 v[36:37], v[104:105], v[36:37], v[86:87]
	v_fma_f64 v[38:39], v[104:105], v[38:39], -v[88:89]
	v_mul_f64 v[86:87], v[114:115], v[42:43]
	v_add_f64 v[32:33], v[60:61], v[72:73]
	s_waitcnt lgkmcnt(0)
	v_mul_f64 v[100:101], v[98:99], v[54:55]
	v_add_f64 v[34:35], v[62:63], v[74:75]
	v_mul_f64 v[88:89], v[98:99], v[52:53]
	ds_read_b128 v[56:59], v169 offset:5632
	ds_read_b128 v[60:63], v169 offset:4928
	v_add_f64 v[98:99], v[32:33], v[90:91]
	v_fma_f64 v[32:33], v[112:113], v[42:43], -v[92:93]
	v_add_f64 v[102:103], v[34:35], v[84:85]
	v_mul_f64 v[42:43], v[110:111], v[50:51]
	s_waitcnt lgkmcnt(1)
	v_mul_f64 v[92:93], v[78:79], v[56:57]
	v_fma_f64 v[50:51], v[108:109], v[50:51], -v[94:95]
	v_fma_f64 v[52:53], v[96:97], v[52:53], v[100:101]
	s_waitcnt lgkmcnt(0)
	v_mul_f64 v[94:95], v[82:83], v[62:63]
	v_mul_f64 v[82:83], v[82:83], v[60:61]
	v_fma_f64 v[34:35], v[112:113], v[40:41], v[86:87]
	v_fma_f64 v[40:41], v[96:97], v[54:55], -v[88:89]
	v_mul_f64 v[78:79], v[78:79], v[58:59]
	v_add_f64 v[54:55], v[98:99], v[36:37]
	v_add_f64 v[88:89], v[66:67], -v[32:33]
	v_add_f64 v[86:87], v[102:103], v[38:39]
	v_add_f64 v[66:67], v[66:67], v[32:33]
	v_fma_f64 v[42:43], v[108:109], v[48:49], v[42:43]
	v_fma_f64 v[48:49], v[76:77], v[58:59], -v[92:93]
	v_add_f64 v[58:59], v[70:71], -v[50:51]
	v_add_f64 v[70:71], v[70:71], v[50:51]
	v_fma_f64 v[60:61], v[80:81], v[60:61], v[94:95]
	v_fma_f64 v[62:63], v[80:81], v[62:63], -v[82:83]
	v_add_f64 v[80:81], v[64:65], v[34:35]
	v_add_f64 v[64:65], v[64:65], -v[34:35]
	v_fma_f64 v[56:57], v[76:77], v[56:57], v[78:79]
	v_add_f64 v[54:55], v[54:55], v[52:53]
	v_mul_f64 v[78:79], v[88:89], s[12:13]
	v_add_f64 v[82:83], v[86:87], v[40:41]
	v_mul_f64 v[86:87], v[88:89], s[2:3]
	v_mul_f64 v[92:93], v[66:67], s[4:5]
	v_add_f64 v[76:77], v[68:69], v[42:43]
	v_mul_f64 v[94:95], v[66:67], s[16:17]
	v_add_f64 v[68:69], v[68:69], -v[42:43]
	v_mul_f64 v[98:99], v[88:89], s[18:19]
	v_mul_f64 v[100:101], v[66:67], s[20:21]
	;; [unrolled: 1-line block ×8, first 2 shown]
	v_add_f64 v[96:97], v[74:75], -v[48:49]
	v_mul_f64 v[110:111], v[58:59], s[22:23]
	v_mul_f64 v[112:113], v[70:71], s[26:27]
	v_mul_f64 v[114:115], v[58:59], s[36:37]
	v_mul_f64 v[116:117], v[70:71], s[34:35]
	v_add_f64 v[54:55], v[54:55], v[60:61]
	v_fma_f64 v[122:123], v[80:81], s[16:17], v[78:79]
	v_add_f64 v[82:83], v[82:83], v[62:63]
	v_fma_f64 v[118:119], v[80:81], s[4:5], v[86:87]
	v_fma_f64 v[120:121], v[64:65], s[0:1], v[92:93]
	v_fma_f64 v[86:87], v[80:81], s[4:5], -v[86:87]
	v_fma_f64 v[92:93], v[64:65], s[2:3], v[92:93]
	v_fma_f64 v[124:125], v[64:65], s[14:15], v[94:95]
	v_fma_f64 v[78:79], v[80:81], s[16:17], -v[78:79]
	v_fma_f64 v[94:95], v[64:65], s[12:13], v[94:95]
	v_fma_f64 v[126:127], v[80:81], s[20:21], v[98:99]
	v_fma_f64 v[128:129], v[64:65], s[24:25], v[100:101]
	v_fma_f64 v[98:99], v[80:81], s[20:21], -v[98:99]
	v_fma_f64 v[100:101], v[64:65], s[18:19], v[100:101]
	;; [unrolled: 4-line block ×4, first 2 shown]
	v_add_f64 v[54:55], v[54:55], v[56:57]
	v_fma_f64 v[88:89], v[68:69], s[14:15], v[108:109]
	v_add_f64 v[66:67], v[82:83], v[48:49]
	v_fma_f64 v[82:83], v[76:77], s[16:17], v[106:107]
	v_add_f64 v[118:119], v[44:45], v[118:119]
	v_add_f64 v[120:121], v[46:47], v[120:121]
	;; [unrolled: 1-line block ×21, first 2 shown]
	v_fma_f64 v[54:55], v[76:77], s[16:17], -v[106:107]
	v_fma_f64 v[66:67], v[68:69], s[12:13], v[108:109]
	v_mul_f64 v[74:75], v[58:59], s[24:25]
	v_mul_f64 v[106:107], v[70:71], s[20:21]
	v_add_f64 v[44:45], v[44:45], v[80:81]
	v_add_f64 v[46:47], v[46:47], v[64:65]
	v_mul_f64 v[58:59], v[58:59], s[0:1]
	v_mul_f64 v[64:65], v[70:71], s[4:5]
	v_fma_f64 v[70:71], v[76:77], s[26:27], v[110:111]
	v_fma_f64 v[80:81], v[68:69], s[30:31], v[112:113]
	v_fma_f64 v[108:109], v[76:77], s[26:27], -v[110:111]
	v_fma_f64 v[110:111], v[68:69], s[22:23], v[112:113]
	v_fma_f64 v[112:113], v[76:77], s[34:35], v[114:115]
	;; [unrolled: 1-line block ×3, first 2 shown]
	v_add_f64 v[82:83], v[82:83], v[118:119]
	v_add_f64 v[88:89], v[88:89], v[120:121]
	v_fma_f64 v[114:115], v[76:77], s[34:35], -v[114:115]
	v_add_f64 v[118:119], v[72:73], v[56:57]
	v_mul_f64 v[120:121], v[96:97], s[18:19]
	v_fma_f64 v[116:117], v[68:69], s[36:37], v[116:117]
	v_add_f64 v[56:57], v[72:73], -v[56:57]
	v_mul_f64 v[72:73], v[48:49], s[20:21]
	v_add_f64 v[54:55], v[54:55], v[86:87]
	v_add_f64 v[66:67], v[66:67], v[92:93]
	v_fma_f64 v[86:87], v[76:77], s[20:21], v[74:75]
	v_fma_f64 v[92:93], v[68:69], s[18:19], v[106:107]
	v_fma_f64 v[74:75], v[76:77], s[20:21], -v[74:75]
	v_fma_f64 v[106:107], v[68:69], s[24:25], v[106:107]
	v_fma_f64 v[140:141], v[76:77], s[4:5], v[58:59]
	;; [unrolled: 1-line block ×3, first 2 shown]
	v_add_f64 v[70:71], v[70:71], v[122:123]
	v_add_f64 v[80:81], v[80:81], v[124:125]
	;; [unrolled: 1-line block ×3, first 2 shown]
	v_mul_f64 v[122:123], v[48:49], s[34:35]
	v_add_f64 v[108:109], v[112:113], v[126:127]
	v_mul_f64 v[112:113], v[96:97], s[36:37]
	v_fma_f64 v[58:59], v[76:77], s[4:5], -v[58:59]
	v_fma_f64 v[64:65], v[68:69], s[0:1], v[64:65]
	v_add_f64 v[76:77], v[114:115], v[98:99]
	v_mul_f64 v[114:115], v[96:97], s[14:15]
	v_fma_f64 v[68:69], v[118:119], s[20:21], v[120:121]
	v_add_f64 v[98:99], v[116:117], v[100:101]
	v_mul_f64 v[116:117], v[48:49], s[16:17]
	v_fma_f64 v[100:101], v[56:57], s[24:25], v[72:73]
	v_add_f64 v[124:125], v[84:85], -v[62:63]
	v_add_f64 v[62:63], v[84:85], v[62:63]
	v_add_f64 v[94:95], v[110:111], v[94:95]
	;; [unrolled: 1-line block ×4, first 2 shown]
	v_mul_f64 v[84:85], v[96:97], s[2:3]
	v_mul_f64 v[126:127], v[48:49], s[4:5]
	v_fma_f64 v[120:121], v[118:119], s[20:21], -v[120:121]
	v_fma_f64 v[72:73], v[56:57], s[18:19], v[72:73]
	v_mul_f64 v[48:49], v[48:49], s[26:27]
	v_mul_f64 v[96:97], v[96:97], s[22:23]
	v_fma_f64 v[130:131], v[56:57], s[28:29], v[122:123]
	v_add_f64 v[92:93], v[92:93], v[132:133]
	v_fma_f64 v[128:129], v[118:119], s[34:35], v[112:113]
	v_add_f64 v[44:45], v[58:59], v[44:45]
	v_add_f64 v[46:47], v[64:65], v[46:47]
	v_fma_f64 v[64:65], v[118:119], s[34:35], -v[112:113]
	v_fma_f64 v[112:113], v[118:119], s[16:17], -v[114:115]
	v_add_f64 v[58:59], v[68:69], v[82:83]
	v_fma_f64 v[68:69], v[56:57], s[36:37], v[122:123]
	v_add_f64 v[74:75], v[74:75], v[102:103]
	v_add_f64 v[82:83], v[100:101], v[88:89]
	v_fma_f64 v[88:89], v[118:119], s[16:17], v[114:115]
	v_fma_f64 v[100:101], v[56:57], s[12:13], v[116:117]
	;; [unrolled: 1-line block ×3, first 2 shown]
	v_add_f64 v[116:117], v[90:91], v[60:61]
	v_add_f64 v[60:61], v[90:91], -v[60:61]
	v_mul_f64 v[90:91], v[124:125], s[22:23]
	v_mul_f64 v[122:123], v[62:63], s[26:27]
	v_add_f64 v[102:103], v[106:107], v[104:105]
	v_add_f64 v[104:105], v[140:141], v[134:135]
	v_fma_f64 v[132:133], v[118:119], s[4:5], v[84:85]
	v_fma_f64 v[134:135], v[56:57], s[0:1], v[126:127]
	v_add_f64 v[54:55], v[120:121], v[54:55]
	v_add_f64 v[66:67], v[72:73], v[66:67]
	;; [unrolled: 1-line block ×3, first 2 shown]
	v_mul_f64 v[80:81], v[124:125], s[24:25]
	v_mul_f64 v[120:121], v[62:63], s[20:21]
	v_fma_f64 v[84:85], v[118:119], s[4:5], -v[84:85]
	v_add_f64 v[64:65], v[64:65], v[78:79]
	v_fma_f64 v[78:79], v[56:57], s[2:3], v[126:127]
	v_add_f64 v[106:107], v[142:143], v[136:137]
	v_add_f64 v[68:69], v[68:69], v[94:95]
	;; [unrolled: 1-line block ×4, first 2 shown]
	v_fma_f64 v[108:109], v[56:57], s[30:31], v[48:49]
	v_fma_f64 v[48:49], v[56:57], s[22:23], v[48:49]
	v_add_f64 v[94:95], v[100:101], v[110:111]
	v_fma_f64 v[100:101], v[118:119], s[26:27], v[96:97]
	v_fma_f64 v[56:57], v[116:117], s[26:27], v[90:91]
	v_mul_f64 v[112:113], v[124:125], s[2:3]
	v_add_f64 v[98:99], v[114:115], v[98:99]
	v_fma_f64 v[96:97], v[118:119], s[26:27], -v[96:97]
	v_fma_f64 v[110:111], v[60:61], s[30:31], v[122:123]
	v_fma_f64 v[114:115], v[60:61], s[22:23], v[122:123]
	v_mul_f64 v[118:119], v[62:63], s[4:5]
	v_fma_f64 v[90:91], v[116:117], s[26:27], -v[90:91]
	v_add_f64 v[86:87], v[132:133], v[86:87]
	v_fma_f64 v[122:123], v[116:117], s[20:21], v[80:81]
	v_fma_f64 v[126:127], v[60:61], s[18:19], v[120:121]
	v_add_f64 v[74:75], v[84:85], v[74:75]
	v_fma_f64 v[80:81], v[116:117], s[20:21], -v[80:81]
	v_fma_f64 v[84:85], v[60:61], s[24:25], v[120:121]
	v_add_f64 v[78:79], v[78:79], v[102:103]
	v_mul_f64 v[102:103], v[124:125], s[28:29]
	v_mul_f64 v[120:121], v[62:63], s[34:35]
	;; [unrolled: 1-line block ×3, first 2 shown]
	v_add_f64 v[92:93], v[134:135], v[92:93]
	v_add_f64 v[46:47], v[48:49], v[46:47]
	;; [unrolled: 1-line block ×5, first 2 shown]
	v_add_f64 v[58:59], v[38:39], -v[40:41]
	v_add_f64 v[38:39], v[38:39], v[40:41]
	v_add_f64 v[104:105], v[108:109], v[106:107]
	v_mul_f64 v[106:107], v[124:125], s[14:15]
	v_fma_f64 v[40:41], v[116:117], s[4:5], v[112:113]
	v_add_f64 v[56:57], v[110:111], v[82:83]
	v_add_f64 v[82:83], v[114:115], v[66:67]
	v_fma_f64 v[66:67], v[60:61], s[0:1], v[118:119]
	v_add_f64 v[54:55], v[90:91], v[54:55]
	v_fma_f64 v[90:91], v[116:117], s[4:5], -v[112:113]
	v_add_f64 v[44:45], v[96:97], v[44:45]
	v_add_f64 v[64:65], v[80:81], v[64:65]
	;; [unrolled: 1-line block ×3, first 2 shown]
	v_fma_f64 v[68:69], v[60:61], s[2:3], v[118:119]
	v_fma_f64 v[84:85], v[116:117], s[34:35], v[102:103]
	;; [unrolled: 1-line block ×6, first 2 shown]
	v_add_f64 v[62:63], v[36:37], v[52:53]
	v_add_f64 v[36:37], v[36:37], -v[52:53]
	v_fma_f64 v[102:103], v[116:117], s[34:35], -v[102:103]
	v_mul_f64 v[52:53], v[58:59], s[28:29]
	v_mul_f64 v[114:115], v[38:39], s[34:35]
	;; [unrolled: 1-line block ×3, first 2 shown]
	v_fma_f64 v[110:111], v[116:117], s[16:17], v[106:107]
	v_fma_f64 v[106:107], v[116:117], s[16:17], -v[106:107]
	v_add_f64 v[88:89], v[40:41], v[88:89]
	v_mul_f64 v[40:41], v[58:59], s[0:1]
	v_mul_f64 v[116:117], v[38:39], s[4:5]
	v_add_f64 v[66:67], v[66:67], v[94:95]
	v_mul_f64 v[94:95], v[58:59], s[22:23]
	v_add_f64 v[76:77], v[90:91], v[76:77]
	v_mul_f64 v[90:91], v[58:59], s[14:15]
	v_mul_f64 v[120:121], v[38:39], s[16:17]
	;; [unrolled: 1-line block ×4, first 2 shown]
	v_add_f64 v[98:99], v[68:69], v[98:99]
	v_add_f64 v[68:69], v[84:85], v[86:87]
	;; [unrolled: 1-line block ×7, first 2 shown]
	v_fma_f64 v[46:47], v[62:63], s[34:35], v[52:53]
	v_fma_f64 v[96:97], v[36:37], s[36:37], v[114:115]
	v_add_f64 v[78:79], v[108:109], v[78:79]
	v_add_f64 v[86:87], v[110:111], v[100:101]
	;; [unrolled: 1-line block ×3, first 2 shown]
	v_fma_f64 v[52:53], v[62:63], s[34:35], -v[52:53]
	v_fma_f64 v[100:101], v[62:63], s[4:5], v[40:41]
	v_fma_f64 v[102:103], v[36:37], s[2:3], v[116:117]
	;; [unrolled: 1-line block ×4, first 2 shown]
	v_add_f64 v[92:93], v[112:113], v[104:105]
	v_fma_f64 v[104:105], v[62:63], s[4:5], -v[40:41]
	v_fma_f64 v[110:111], v[62:63], s[16:17], v[90:91]
	v_fma_f64 v[112:113], v[36:37], s[12:13], v[120:121]
	;; [unrolled: 1-line block ×4, first 2 shown]
	v_fma_f64 v[94:95], v[62:63], s[26:27], -v[94:95]
	v_fma_f64 v[90:91], v[62:63], s[16:17], -v[90:91]
	;; [unrolled: 1-line block ×3, first 2 shown]
	v_fma_f64 v[128:129], v[36:37], s[18:19], v[38:39]
	v_fma_f64 v[120:121], v[36:37], s[14:15], v[120:121]
	;; [unrolled: 1-line block ×5, first 2 shown]
	v_add_f64 v[34:35], v[42:43], v[34:35]
	v_add_f64 v[36:37], v[50:51], v[32:33]
	;; [unrolled: 1-line block ×22, first 2 shown]
	ds_write_b128 v169, v[34:37]
	ds_write_b128 v169, v[38:41] offset:704
	ds_write_b128 v169, v[46:49] offset:1408
	;; [unrolled: 1-line block ×10, first 2 shown]
	s_waitcnt lgkmcnt(0)
	s_barrier
	buffer_gl0_inv
	ds_read_b128 v[32:35], v169
	ds_read_b128 v[36:39], v169 offset:704
	ds_read_b128 v[40:43], v169 offset:1936
	v_mad_u64_u32 v[56:57], null, s8, v170, 0
	v_mad_u64_u32 v[54:55], null, s10, v164, 0
	ds_read_b128 v[44:47], v169 offset:3872
	s_mov_b32 s2, 0x6be69c90
	s_mov_b32 s3, 0x3f60ecf5
	s_mul_hi_u32 s1, s8, 0x79
	v_mov_b32_e32 v50, v55
	s_waitcnt lgkmcnt(3)
	v_mul_f64 v[48:49], v[10:11], v[34:35]
	v_mul_f64 v[10:11], v[10:11], v[32:33]
	v_fma_f64 v[52:53], v[8:9], v[32:33], v[48:49]
	v_fma_f64 v[58:59], v[8:9], v[34:35], -v[10:11]
	v_mov_b32_e32 v32, v57
	ds_read_b128 v[8:11], v169 offset:2640
	s_waitcnt lgkmcnt(2)
	v_mul_f64 v[60:61], v[2:3], v[42:43]
	v_mad_u64_u32 v[48:49], null, s11, v164, v[50:51]
	v_mad_u64_u32 v[62:63], null, s9, v170, v[32:33]
	ds_read_b128 v[32:35], v169 offset:5808
	v_mul_f64 v[2:3], v[2:3], v[40:41]
	v_mov_b32_e32 v55, v48
	ds_read_b128 v[48:51], v169 offset:4576
	s_waitcnt lgkmcnt(3)
	v_mul_f64 v[63:64], v[22:23], v[46:47]
	v_mul_f64 v[22:23], v[22:23], v[44:45]
	v_mov_b32_e32 v57, v62
	v_lshlrev_b64 v[65:66], 4, v[54:55]
	v_lshlrev_b64 v[67:68], 4, v[56:57]
	v_mul_f64 v[54:55], v[58:59], s[2:3]
	ds_read_b128 v[56:59], v169 offset:6512
	v_add_co_u32 v62, s0, s6, v65
	v_fma_f64 v[40:41], v[0:1], v[40:41], v[60:61]
	v_add_co_ci_u32_e64 v65, s0, s7, v66, s0
	s_waitcnt lgkmcnt(2)
	v_mul_f64 v[60:61], v[18:19], v[34:35]
	v_mul_f64 v[18:19], v[18:19], v[32:33]
	v_fma_f64 v[2:3], v[0:1], v[42:43], -v[2:3]
	v_add_co_u32 v42, s0, v62, v67
	v_add_co_ci_u32_e64 v43, s0, v65, v68, s0
	v_fma_f64 v[44:45], v[20:21], v[44:45], v[63:64]
	v_mul_f64 v[62:63], v[6:7], v[38:39]
	v_fma_f64 v[20:21], v[20:21], v[46:47], -v[22:23]
	v_mul_f64 v[6:7], v[6:7], v[36:37]
	v_mul_f64 v[22:23], v[14:15], v[10:11]
	;; [unrolled: 1-line block ×3, first 2 shown]
	s_waitcnt lgkmcnt(1)
	v_mul_f64 v[64:65], v[26:27], v[50:51]
	v_mul_f64 v[26:27], v[26:27], v[48:49]
	s_waitcnt lgkmcnt(0)
	v_mul_f64 v[66:67], v[30:31], v[58:59]
	v_mul_f64 v[30:31], v[30:31], v[56:57]
	s_mul_i32 s0, s9, 0x79
	v_mul_f64 v[52:53], v[52:53], s[2:3]
	s_add_i32 s1, s1, s0
	s_mul_i32 s0, s8, 0x79
	v_mul_f64 v[0:1], v[40:41], s[2:3]
	v_fma_f64 v[32:33], v[16:17], v[32:33], v[60:61]
	s_lshl_b64 s[4:5], s[0:1], 4
	v_fma_f64 v[18:19], v[16:17], v[34:35], -v[18:19]
	v_add_co_u32 v34, s0, v42, s4
	v_add_co_ci_u32_e64 v35, s0, s5, v43, s0
	v_mul_f64 v[2:3], v[2:3], s[2:3]
	v_fma_f64 v[36:37], v[4:5], v[36:37], v[62:63]
	v_mul_f64 v[16:17], v[20:21], s[2:3]
	v_fma_f64 v[20:21], v[4:5], v[38:39], -v[6:7]
	v_fma_f64 v[22:23], v[12:13], v[8:9], v[22:23]
	v_fma_f64 v[12:13], v[12:13], v[10:11], -v[46:47]
	v_fma_f64 v[38:39], v[24:25], v[48:49], v[64:65]
	;; [unrolled: 2-line block ×3, first 2 shown]
	v_fma_f64 v[28:29], v[28:29], v[58:59], -v[30:31]
	v_add_co_u32 v30, s0, v34, s4
	v_add_co_ci_u32_e64 v31, s0, s5, v35, s0
	s_mul_i32 s1, s9, 0xfffffec1
	v_mul_f64 v[4:5], v[32:33], s[2:3]
	v_add_co_u32 v32, s0, v30, s4
	v_add_co_ci_u32_e64 v33, s0, s5, v31, s0
	s_mul_hi_u32 s0, s8, 0xfffffec1
	v_mul_f64 v[14:15], v[44:45], s[2:3]
	s_sub_i32 s0, s0, s8
	v_mul_f64 v[6:7], v[18:19], s[2:3]
	s_add_i32 s1, s0, s1
	s_mul_i32 s0, s8, 0xfffffec1
	v_mul_f64 v[10:11], v[20:21], s[2:3]
	s_lshl_b64 s[6:7], s[0:1], 4
	v_mul_f64 v[20:21], v[12:13], s[2:3]
	v_add_co_u32 v12, s0, v32, s6
	v_mul_f64 v[8:9], v[36:37], s[2:3]
	v_mul_f64 v[18:19], v[22:23], s[2:3]
	v_add_co_ci_u32_e64 v13, s0, s7, v33, s0
	v_mul_f64 v[22:23], v[38:39], s[2:3]
	v_mul_f64 v[24:25], v[24:25], s[2:3]
	;; [unrolled: 1-line block ×4, first 2 shown]
	v_add_co_u32 v36, s0, v12, s4
	v_add_co_ci_u32_e64 v37, s0, s5, v13, s0
	global_store_dwordx4 v[42:43], v[52:55], off
	global_store_dwordx4 v[34:35], v[0:3], off
	v_add_co_u32 v2, s0, v36, s4
	v_add_co_ci_u32_e64 v3, s0, s5, v37, s0
	global_store_dwordx4 v[30:31], v[14:17], off
	v_add_co_u32 v0, s0, v2, s4
	v_add_co_ci_u32_e64 v1, s0, s5, v3, s0
	global_store_dwordx4 v[32:33], v[4:7], off
	global_store_dwordx4 v[12:13], v[8:11], off
	;; [unrolled: 1-line block ×5, first 2 shown]
	s_and_b32 exec_lo, exec_lo, vcc_lo
	s_cbranch_execz .LBB0_15
; %bb.14:
	s_clause 0x3
	global_load_dwordx4 v[2:5], v[160:161], off offset:1408
	global_load_dwordx4 v[6:9], v[165:166], off offset:1296
	;; [unrolled: 1-line block ×4, first 2 shown]
	ds_read_b128 v[18:21], v169 offset:1408
	ds_read_b128 v[22:25], v169 offset:3344
	;; [unrolled: 1-line block ×4, first 2 shown]
	v_add_co_u32 v0, vcc_lo, v0, s6
	v_add_co_ci_u32_e32 v1, vcc_lo, s7, v1, vcc_lo
	s_waitcnt vmcnt(3) lgkmcnt(3)
	v_mul_f64 v[34:35], v[20:21], v[4:5]
	v_mul_f64 v[4:5], v[18:19], v[4:5]
	s_waitcnt vmcnt(2) lgkmcnt(2)
	v_mul_f64 v[36:37], v[24:25], v[8:9]
	v_mul_f64 v[8:9], v[22:23], v[8:9]
	s_waitcnt vmcnt(1) lgkmcnt(1)
	v_mul_f64 v[38:39], v[28:29], v[12:13]
	v_mul_f64 v[12:13], v[26:27], v[12:13]
	s_waitcnt vmcnt(0) lgkmcnt(0)
	v_mul_f64 v[40:41], v[32:33], v[16:17]
	v_mul_f64 v[16:17], v[30:31], v[16:17]
	v_fma_f64 v[18:19], v[18:19], v[2:3], v[34:35]
	v_fma_f64 v[4:5], v[2:3], v[20:21], -v[4:5]
	v_fma_f64 v[20:21], v[22:23], v[6:7], v[36:37]
	v_fma_f64 v[8:9], v[6:7], v[24:25], -v[8:9]
	;; [unrolled: 2-line block ×4, first 2 shown]
	v_mul_f64 v[2:3], v[18:19], s[2:3]
	v_mul_f64 v[4:5], v[4:5], s[2:3]
	;; [unrolled: 1-line block ×8, first 2 shown]
	v_add_co_u32 v18, vcc_lo, v0, s4
	v_add_co_ci_u32_e32 v19, vcc_lo, s5, v1, vcc_lo
	v_add_co_u32 v20, vcc_lo, v18, s4
	v_add_co_ci_u32_e32 v21, vcc_lo, s5, v19, vcc_lo
	;; [unrolled: 2-line block ×3, first 2 shown]
	global_store_dwordx4 v[0:1], v[2:5], off
	global_store_dwordx4 v[18:19], v[6:9], off
	;; [unrolled: 1-line block ×4, first 2 shown]
.LBB0_15:
	s_endpgm
	.section	.rodata,"a",@progbits
	.p2align	6, 0x0
	.amdhsa_kernel bluestein_single_back_len484_dim1_dp_op_CI_CI
		.amdhsa_group_segment_fixed_size 7744
		.amdhsa_private_segment_fixed_size 0
		.amdhsa_kernarg_size 104
		.amdhsa_user_sgpr_count 6
		.amdhsa_user_sgpr_private_segment_buffer 1
		.amdhsa_user_sgpr_dispatch_ptr 0
		.amdhsa_user_sgpr_queue_ptr 0
		.amdhsa_user_sgpr_kernarg_segment_ptr 1
		.amdhsa_user_sgpr_dispatch_id 0
		.amdhsa_user_sgpr_flat_scratch_init 0
		.amdhsa_user_sgpr_private_segment_size 0
		.amdhsa_wavefront_size32 1
		.amdhsa_uses_dynamic_stack 0
		.amdhsa_system_sgpr_private_segment_wavefront_offset 0
		.amdhsa_system_sgpr_workgroup_id_x 1
		.amdhsa_system_sgpr_workgroup_id_y 0
		.amdhsa_system_sgpr_workgroup_id_z 0
		.amdhsa_system_sgpr_workgroup_info 0
		.amdhsa_system_vgpr_workitem_id 0
		.amdhsa_next_free_vgpr 241
		.amdhsa_next_free_sgpr 38
		.amdhsa_reserve_vcc 1
		.amdhsa_reserve_flat_scratch 0
		.amdhsa_float_round_mode_32 0
		.amdhsa_float_round_mode_16_64 0
		.amdhsa_float_denorm_mode_32 3
		.amdhsa_float_denorm_mode_16_64 3
		.amdhsa_dx10_clamp 1
		.amdhsa_ieee_mode 1
		.amdhsa_fp16_overflow 0
		.amdhsa_workgroup_processor_mode 1
		.amdhsa_memory_ordered 1
		.amdhsa_forward_progress 0
		.amdhsa_shared_vgpr_count 0
		.amdhsa_exception_fp_ieee_invalid_op 0
		.amdhsa_exception_fp_denorm_src 0
		.amdhsa_exception_fp_ieee_div_zero 0
		.amdhsa_exception_fp_ieee_overflow 0
		.amdhsa_exception_fp_ieee_underflow 0
		.amdhsa_exception_fp_ieee_inexact 0
		.amdhsa_exception_int_div_zero 0
	.end_amdhsa_kernel
	.text
.Lfunc_end0:
	.size	bluestein_single_back_len484_dim1_dp_op_CI_CI, .Lfunc_end0-bluestein_single_back_len484_dim1_dp_op_CI_CI
                                        ; -- End function
	.section	.AMDGPU.csdata,"",@progbits
; Kernel info:
; codeLenInByte = 16804
; NumSgprs: 40
; NumVgprs: 241
; ScratchSize: 0
; MemoryBound: 0
; FloatMode: 240
; IeeeMode: 1
; LDSByteSize: 7744 bytes/workgroup (compile time only)
; SGPRBlocks: 4
; VGPRBlocks: 30
; NumSGPRsForWavesPerEU: 40
; NumVGPRsForWavesPerEU: 241
; Occupancy: 4
; WaveLimiterHint : 1
; COMPUTE_PGM_RSRC2:SCRATCH_EN: 0
; COMPUTE_PGM_RSRC2:USER_SGPR: 6
; COMPUTE_PGM_RSRC2:TRAP_HANDLER: 0
; COMPUTE_PGM_RSRC2:TGID_X_EN: 1
; COMPUTE_PGM_RSRC2:TGID_Y_EN: 0
; COMPUTE_PGM_RSRC2:TGID_Z_EN: 0
; COMPUTE_PGM_RSRC2:TIDIG_COMP_CNT: 0
	.text
	.p2alignl 6, 3214868480
	.fill 48, 4, 3214868480
	.type	__hip_cuid_8cacb853ca9651ea,@object ; @__hip_cuid_8cacb853ca9651ea
	.section	.bss,"aw",@nobits
	.globl	__hip_cuid_8cacb853ca9651ea
__hip_cuid_8cacb853ca9651ea:
	.byte	0                               ; 0x0
	.size	__hip_cuid_8cacb853ca9651ea, 1

	.ident	"AMD clang version 19.0.0git (https://github.com/RadeonOpenCompute/llvm-project roc-6.4.0 25133 c7fe45cf4b819c5991fe208aaa96edf142730f1d)"
	.section	".note.GNU-stack","",@progbits
	.addrsig
	.addrsig_sym __hip_cuid_8cacb853ca9651ea
	.amdgpu_metadata
---
amdhsa.kernels:
  - .args:
      - .actual_access:  read_only
        .address_space:  global
        .offset:         0
        .size:           8
        .value_kind:     global_buffer
      - .actual_access:  read_only
        .address_space:  global
        .offset:         8
        .size:           8
        .value_kind:     global_buffer
      - .actual_access:  read_only
        .address_space:  global
        .offset:         16
        .size:           8
        .value_kind:     global_buffer
      - .actual_access:  read_only
        .address_space:  global
        .offset:         24
        .size:           8
        .value_kind:     global_buffer
      - .actual_access:  read_only
        .address_space:  global
        .offset:         32
        .size:           8
        .value_kind:     global_buffer
      - .offset:         40
        .size:           8
        .value_kind:     by_value
      - .address_space:  global
        .offset:         48
        .size:           8
        .value_kind:     global_buffer
      - .address_space:  global
        .offset:         56
        .size:           8
        .value_kind:     global_buffer
      - .address_space:  global
        .offset:         64
        .size:           8
        .value_kind:     global_buffer
      - .address_space:  global
        .offset:         72
        .size:           8
        .value_kind:     global_buffer
      - .offset:         80
        .size:           4
        .value_kind:     by_value
      - .address_space:  global
        .offset:         88
        .size:           8
        .value_kind:     global_buffer
      - .address_space:  global
        .offset:         96
        .size:           8
        .value_kind:     global_buffer
    .group_segment_fixed_size: 7744
    .kernarg_segment_align: 8
    .kernarg_segment_size: 104
    .language:       OpenCL C
    .language_version:
      - 2
      - 0
    .max_flat_workgroup_size: 44
    .name:           bluestein_single_back_len484_dim1_dp_op_CI_CI
    .private_segment_fixed_size: 0
    .sgpr_count:     40
    .sgpr_spill_count: 0
    .symbol:         bluestein_single_back_len484_dim1_dp_op_CI_CI.kd
    .uniform_work_group_size: 1
    .uses_dynamic_stack: false
    .vgpr_count:     241
    .vgpr_spill_count: 0
    .wavefront_size: 32
    .workgroup_processor_mode: 1
amdhsa.target:   amdgcn-amd-amdhsa--gfx1030
amdhsa.version:
  - 1
  - 2
...

	.end_amdgpu_metadata
